;; amdgpu-corpus repo=ROCm/rocFFT kind=compiled arch=gfx906 opt=O3
	.text
	.amdgcn_target "amdgcn-amd-amdhsa--gfx906"
	.amdhsa_code_object_version 6
	.protected	bluestein_single_back_len588_dim1_half_op_CI_CI ; -- Begin function bluestein_single_back_len588_dim1_half_op_CI_CI
	.globl	bluestein_single_back_len588_dim1_half_op_CI_CI
	.p2align	8
	.type	bluestein_single_back_len588_dim1_half_op_CI_CI,@function
bluestein_single_back_len588_dim1_half_op_CI_CI: ; @bluestein_single_back_len588_dim1_half_op_CI_CI
; %bb.0:
	v_mul_u32_u24_e32 v1, 0x30d, v0
	s_load_dwordx4 s[8:11], s[4:5], 0x28
	v_lshrrev_b32_e32 v1, 16, v1
	v_mad_u64_u32 v[10:11], s[0:1], s6, 3, v[1:2]
	v_mov_b32_e32 v11, 0
	s_waitcnt lgkmcnt(0)
	v_cmp_gt_u64_e32 vcc, s[8:9], v[10:11]
	s_and_saveexec_b64 s[0:1], vcc
	s_cbranch_execz .LBB0_18
; %bb.1:
	s_load_dwordx4 s[0:3], s[4:5], 0x18
	s_load_dwordx4 s[12:15], s[4:5], 0x0
	v_mul_lo_u16_e32 v1, 0x54, v1
	v_sub_u16_e32 v34, v0, v1
	v_lshlrev_b32_e32 v19, 2, v34
	s_waitcnt lgkmcnt(0)
	s_load_dwordx4 s[16:19], s[0:1], 0x0
	s_movk_i32 s6, 0x2b26
	s_mov_b32 s7, 0xb846
                                        ; implicit-def: $vgpr17
                                        ; implicit-def: $vgpr18
	s_waitcnt lgkmcnt(0)
	v_mad_u64_u32 v[0:1], s[0:1], s18, v10, 0
	v_mad_u64_u32 v[2:3], s[0:1], s16, v34, 0
	v_mad_u64_u32 v[4:5], s[0:1], s19, v10, v[1:2]
	v_mad_u64_u32 v[5:6], s[0:1], s17, v34, v[3:4]
	v_mov_b32_e32 v1, v4
	v_lshlrev_b64 v[0:1], 2, v[0:1]
	v_mov_b32_e32 v6, s11
	v_mov_b32_e32 v3, v5
	v_add_co_u32_e32 v4, vcc, s10, v0
	v_addc_co_u32_e32 v5, vcc, v6, v1, vcc
	v_lshlrev_b64 v[0:1], 2, v[2:3]
	s_mul_i32 s0, s17, 0x150
	v_add_co_u32_e32 v0, vcc, v4, v0
	s_mul_hi_u32 s1, s16, 0x150
	v_addc_co_u32_e32 v1, vcc, v5, v1, vcc
	s_add_i32 s0, s1, s0
	s_mul_i32 s1, s16, 0x150
	global_load_dword v2, v[0:1], off
	v_mov_b32_e32 v3, s0
	v_add_co_u32_e32 v0, vcc, s1, v0
	v_addc_co_u32_e32 v1, vcc, v1, v3, vcc
	global_load_dword v3, v[0:1], off
	global_load_dword v35, v19, s[12:13]
	global_load_dword v33, v19, s[12:13] offset:336
	v_mov_b32_e32 v4, s0
	v_add_co_u32_e32 v0, vcc, s1, v0
	v_addc_co_u32_e32 v1, vcc, v1, v4, vcc
	global_load_dword v4, v[0:1], off
	global_load_dword v32, v19, s[12:13] offset:672
	v_mov_b32_e32 v5, s0
	v_add_co_u32_e32 v0, vcc, s1, v0
	v_addc_co_u32_e32 v1, vcc, v1, v5, vcc
	global_load_dword v5, v[0:1], off
	;; [unrolled: 5-line block ×5, first 2 shown]
	global_load_dword v27, v19, s[12:13] offset:2016
	s_mov_b32 s0, 0xaaaaaaab
	v_mul_hi_u32 v0, v10, s0
	s_load_dwordx4 s[8:11], s[2:3], 0x0
	s_movk_i32 s0, 0x3a52
	s_movk_i32 s1, 0x3b00
	v_lshrrev_b32_e32 v0, 1, v0
	v_lshl_add_u32 v0, v0, 1, v0
	v_sub_u32_e32 v0, v10, v0
	v_mul_u32_u24_e32 v0, 0x24c, v0
	v_lshlrev_b32_e32 v36, 2, v0
	v_add_u32_e32 v28, v19, v36
	s_mov_b32 s16, 0xffff
	s_load_dwordx2 s[2:3], s[4:5], 0x38
	v_cmp_gt_u16_e32 vcc, 28, v34
	s_waitcnt vmcnt(13)
	v_lshrrev_b32_e32 v0, 16, v2
	s_waitcnt vmcnt(11)
	v_mul_f16_sdwa v1, v35, v2 dst_sel:DWORD dst_unused:UNUSED_PAD src0_sel:WORD_1 src1_sel:DWORD
	v_mul_f16_sdwa v9, v35, v0 dst_sel:DWORD dst_unused:UNUSED_PAD src0_sel:WORD_1 src1_sel:DWORD
	v_fma_f16 v0, v35, v0, -v1
	v_lshrrev_b32_e32 v1, 16, v3
	s_waitcnt vmcnt(10)
	v_mul_f16_sdwa v11, v33, v3 dst_sel:DWORD dst_unused:UNUSED_PAD src0_sel:WORD_1 src1_sel:DWORD
	v_fma_f16 v2, v35, v2, v9
	v_mul_f16_sdwa v9, v33, v1 dst_sel:DWORD dst_unused:UNUSED_PAD src0_sel:WORD_1 src1_sel:DWORD
	v_fma_f16 v1, v33, v1, -v11
	s_waitcnt vmcnt(9)
	v_lshrrev_b32_e32 v11, 16, v4
	s_waitcnt vmcnt(8)
	v_mul_f16_sdwa v12, v32, v4 dst_sel:DWORD dst_unused:UNUSED_PAD src0_sel:WORD_1 src1_sel:DWORD
	v_pack_b32_f16 v0, v2, v0
	v_fma_f16 v2, v33, v3, v9
	v_mul_f16_sdwa v3, v32, v11 dst_sel:DWORD dst_unused:UNUSED_PAD src0_sel:WORD_1 src1_sel:DWORD
	v_fma_f16 v9, v32, v11, -v12
	s_waitcnt vmcnt(7)
	v_lshrrev_b32_e32 v11, 16, v5
	s_waitcnt vmcnt(6)
	v_mul_f16_sdwa v12, v31, v5 dst_sel:DWORD dst_unused:UNUSED_PAD src0_sel:WORD_1 src1_sel:DWORD
	v_pack_b32_f16 v1, v2, v1
	v_fma_f16 v2, v32, v4, v3
	v_mul_f16_sdwa v3, v31, v11 dst_sel:DWORD dst_unused:UNUSED_PAD src0_sel:WORD_1 src1_sel:DWORD
	v_fma_f16 v4, v31, v11, -v12
	ds_write2_b32 v28, v0, v1 offset1:84
	v_fma_f16 v1, v31, v5, v3
	v_pack_b32_f16 v0, v2, v9
	v_pack_b32_f16 v1, v1, v4
	ds_write2_b32 v28, v0, v1 offset0:168 offset1:252
	s_waitcnt vmcnt(5)
	v_lshrrev_b32_e32 v0, 16, v6
	s_waitcnt vmcnt(4)
	v_mul_f16_sdwa v1, v30, v0 dst_sel:DWORD dst_unused:UNUSED_PAD src0_sel:WORD_1 src1_sel:DWORD
	v_mul_f16_sdwa v2, v30, v6 dst_sel:DWORD dst_unused:UNUSED_PAD src0_sel:WORD_1 src1_sel:DWORD
	v_fma_f16 v1, v30, v6, v1
	v_fma_f16 v0, v30, v0, -v2
	v_pack_b32_f16 v0, v1, v0
	s_waitcnt vmcnt(3)
	v_lshrrev_b32_e32 v1, 16, v7
	s_waitcnt vmcnt(2)
	v_mul_f16_sdwa v2, v29, v1 dst_sel:DWORD dst_unused:UNUSED_PAD src0_sel:WORD_1 src1_sel:DWORD
	v_mul_f16_sdwa v3, v29, v7 dst_sel:DWORD dst_unused:UNUSED_PAD src0_sel:WORD_1 src1_sel:DWORD
	v_fma_f16 v2, v29, v7, v2
	v_fma_f16 v1, v29, v1, -v3
	v_pack_b32_f16 v1, v2, v1
	v_add_u32_e32 v6, 0x400, v28
	ds_write2_b32 v6, v0, v1 offset0:80 offset1:164
	s_waitcnt vmcnt(1)
	v_lshrrev_b32_e32 v0, 16, v8
	s_waitcnt vmcnt(0)
	v_mul_f16_sdwa v1, v27, v0 dst_sel:DWORD dst_unused:UNUSED_PAD src0_sel:WORD_1 src1_sel:DWORD
	v_mul_f16_sdwa v2, v27, v8 dst_sel:DWORD dst_unused:UNUSED_PAD src0_sel:WORD_1 src1_sel:DWORD
	v_fma_f16 v1, v27, v8, v1
	v_fma_f16 v0, v27, v0, -v2
	v_pack_b32_f16 v0, v1, v0
	ds_write_b32 v28, v0 offset:2016
	s_waitcnt lgkmcnt(0)
	s_barrier
	ds_read2_b32 v[0:1], v28 offset0:168 offset1:252
	ds_read2_b32 v[2:3], v6 offset0:80 offset1:164
	ds_read2_b32 v[4:5], v28 offset1:84
	ds_read_b32 v7, v28 offset:2016
	s_waitcnt lgkmcnt(0)
	s_barrier
	v_pk_add_f16 v8, v0, v3
	v_pk_add_f16 v9, v1, v2
	v_pk_add_f16 v0, v0, v3 neg_lo:[0,1] neg_hi:[0,1]
	v_pk_add_f16 v1, v2, v1 neg_lo:[0,1] neg_hi:[0,1]
	v_pk_add_f16 v2, v5, v7
	v_pk_add_f16 v3, v8, v2
	v_pk_add_f16 v5, v5, v7 neg_lo:[0,1] neg_hi:[0,1]
	v_pk_add_f16 v7, v8, v2 neg_lo:[0,1] neg_hi:[0,1]
	;; [unrolled: 1-line block ×3, first 2 shown]
	v_pk_add_f16 v11, v1, v0
	v_pk_add_f16 v3, v9, v3
	;; [unrolled: 1-line block ×3, first 2 shown]
	v_pk_add_f16 v12, v5, v1 neg_lo:[0,1] neg_hi:[0,1]
	v_pk_add_f16 v5, v0, v5 neg_lo:[0,1] neg_hi:[0,1]
	v_pk_mul_f16 v2, v2, s0 op_sel_hi:[1,0]
	s_movk_i32 s0, 0x39e0
	v_pk_add_f16 v4, v4, v3
	v_pk_mul_f16 v7, v7, s0 op_sel_hi:[1,0]
	s_movk_i32 s0, 0x3574
	v_pk_mul_f16 v5, v5, s1 op_sel_hi:[1,0]
	s_mov_b32 s1, 0xbcab
	v_pk_add_f16 v8, v9, v8 neg_lo:[0,1] neg_hi:[0,1]
	v_pk_add_f16 v0, v1, v0 neg_lo:[0,1] neg_hi:[0,1]
	v_pk_fma_f16 v3, v3, s1, v4 op_sel_hi:[1,0,1]
	v_pk_add_f16 v13, v2, v7 op_sel:[1,1] op_sel_hi:[0,0] neg_lo:[1,1] neg_hi:[1,1]
	s_movk_i32 s1, 0x370e
	v_pk_fma_f16 v14, v12, s0, v5 op_sel_hi:[1,0,1] neg_lo:[1,0,1] neg_hi:[1,0,1]
	v_pk_fma_f16 v1, v8, s6, v7 op_sel_hi:[1,0,1] neg_lo:[1,0,0] neg_hi:[1,0,0]
	;; [unrolled: 1-line block ×3, first 2 shown]
	v_pk_add_f16 v13, v13, v3 op_sel:[0,1] op_sel_hi:[1,0]
	v_pk_fma_f16 v14, v11, s1, v14 op_sel_hi:[1,0,1]
	v_pk_add_f16 v1, v1, v3
	v_pk_fma_f16 v5, v11, s1, v5 op_sel_hi:[1,0,1]
	v_pk_add_f16 v15, v13, v14
	v_pk_add_f16 v13, v13, v14 neg_lo:[0,1] neg_hi:[0,1]
	v_pk_add_f16 v7, v1, v5 op_sel:[0,1] op_sel_hi:[1,0] neg_lo:[0,1] neg_hi:[0,1]
	v_pk_add_f16 v1, v1, v5 op_sel:[0,1] op_sel_hi:[1,0]
	v_mul_lo_u16_e32 v5, 7, v34
	v_lshl_add_u32 v23, v5, 2, v36
	v_alignbit_b32 v5, v13, v15, 16
	v_bfi_b32 v9, s16, v7, v1
	ds_write2_b32 v23, v5, v9 offset0:2 offset1:3
	v_bfi_b32 v1, s16, v1, v7
	v_alignbit_b32 v5, v15, v13, 16
	v_pk_mul_f16 v7, v12, s0 op_sel_hi:[1,0]
	ds_write2_b32 v23, v1, v5 offset0:4 offset1:5
	v_pk_fma_f16 v1, v8, s6, v2 op_sel_hi:[1,0,1]
	v_pk_fma_f16 v0, v0, s7, v7 op_sel_hi:[1,0,1]
	v_pk_add_f16 v1, v1, v3
	v_pk_fma_f16 v0, v11, s1, v0 op_sel_hi:[1,0,1]
	v_pk_add_f16 v8, v1, v0 op_sel:[0,1] op_sel_hi:[1,0]
	v_pk_add_f16 v2, v1, v0 op_sel:[0,1] op_sel_hi:[1,0] neg_lo:[0,1] neg_hi:[0,1]
	v_bfi_b32 v0, s16, v2, v8
	v_bfi_b32 v1, s16, v8, v2
	ds_write2_b32 v23, v4, v1 offset1:1
	ds_write_b32 v23, v0 offset:24
	s_waitcnt lgkmcnt(0)
	s_barrier
	ds_read2_b32 v[0:1], v28 offset1:84
	v_add_u32_e32 v3, 0x200, v28
	ds_read2_b32 v[4:5], v6 offset0:136 offset1:220
	ds_read2_b32 v[6:7], v3 offset0:68 offset1:152
	v_lshrrev_b32_e32 v8, 16, v8
                                        ; implicit-def: $vgpr9
	s_and_saveexec_b64 s[0:1], vcc
	s_cbranch_execz .LBB0_3
; %bb.2:
	ds_read2_b32 v[2:3], v3 offset0:40 offset1:236
	ds_read_b32 v17, v28 offset:2240
	s_waitcnt lgkmcnt(1)
	v_lshrrev_b32_e32 v8, 16, v2
	v_lshrrev_b32_e32 v9, 16, v3
	s_waitcnt lgkmcnt(0)
	v_lshrrev_b32_e32 v18, 16, v17
.LBB0_3:
	s_or_b64 exec, exec, s[0:1]
	v_mov_b32_e32 v13, 37
	v_add_u16_e32 v20, 0x54, v34
	v_mul_lo_u16_sdwa v11, v20, v13 dst_sel:DWORD dst_unused:UNUSED_PAD src0_sel:BYTE_0 src1_sel:DWORD
	v_sub_u16_sdwa v12, v20, v11 dst_sel:DWORD dst_unused:UNUSED_PAD src0_sel:DWORD src1_sel:BYTE_1
	v_lshrrev_b16_e32 v12, 1, v12
	v_and_b32_e32 v12, 0x7f, v12
	v_add_u16_sdwa v11, v12, v11 dst_sel:DWORD dst_unused:UNUSED_PAD src0_sel:DWORD src1_sel:BYTE_1
	v_lshrrev_b16_e32 v21, 2, v11
	v_mul_lo_u16_e32 v11, 7, v21
	v_sub_u16_e32 v22, v20, v11
	v_add_u16_e32 v11, 0xa8, v34
	v_mul_lo_u16_sdwa v12, v11, v13 dst_sel:DWORD dst_unused:UNUSED_PAD src0_sel:BYTE_0 src1_sel:DWORD
	v_sub_u16_sdwa v16, v11, v12 dst_sel:DWORD dst_unused:UNUSED_PAD src0_sel:DWORD src1_sel:BYTE_1
	v_lshrrev_b16_e32 v16, 1, v16
	v_and_b32_e32 v16, 0x7f, v16
	v_mul_lo_u16_sdwa v13, v34, v13 dst_sel:DWORD dst_unused:UNUSED_PAD src0_sel:BYTE_0 src1_sel:DWORD
	v_add_u16_sdwa v12, v16, v12 dst_sel:DWORD dst_unused:UNUSED_PAD src0_sel:DWORD src1_sel:BYTE_1
	v_sub_u16_sdwa v16, v34, v13 dst_sel:DWORD dst_unused:UNUSED_PAD src0_sel:DWORD src1_sel:BYTE_1
	v_lshrrev_b16_e32 v16, 1, v16
	v_and_b32_e32 v16, 0x7f, v16
	v_add_u16_sdwa v13, v16, v13 dst_sel:DWORD dst_unused:UNUSED_PAD src0_sel:DWORD src1_sel:BYTE_1
	v_lshrrev_b16_e32 v37, 2, v12
	v_lshrrev_b16_e32 v24, 2, v13
	v_mul_lo_u16_e32 v12, 7, v37
	v_mul_lo_u16_e32 v16, 7, v24
	v_mov_b32_e32 v15, 3
	v_sub_u16_e32 v38, v11, v12
	v_sub_u16_e32 v25, v34, v16
	v_lshlrev_b32_sdwa v14, v15, v22 dst_sel:DWORD dst_unused:UNUSED_PAD src0_sel:DWORD src1_sel:BYTE_0
	v_lshlrev_b32_sdwa v11, v15, v38 dst_sel:DWORD dst_unused:UNUSED_PAD src0_sel:DWORD src1_sel:BYTE_0
	;; [unrolled: 1-line block ×3, first 2 shown]
	global_load_dwordx2 v[11:12], v11, s[14:15]
	v_mul_u32_u24_e32 v24, 21, v24
	global_load_dwordx2 v[13:14], v14, s[14:15]
	s_waitcnt lgkmcnt(0)
	v_lshrrev_b32_e32 v26, 16, v7
	global_load_dwordx2 v[15:16], v15, s[14:15]
	v_lshrrev_b32_e32 v40, 16, v5
	v_lshrrev_b32_e32 v41, 16, v6
	;; [unrolled: 1-line block ×3, first 2 shown]
	v_mul_u32_u24_e32 v21, 21, v21
	v_add_u32_sdwa v24, v24, v25 dst_sel:DWORD dst_unused:UNUSED_PAD src0_sel:DWORD src1_sel:BYTE_0
	v_add_u32_sdwa v21, v21, v22 dst_sel:DWORD dst_unused:UNUSED_PAD src0_sel:DWORD src1_sel:BYTE_0
	v_lshl_add_u32 v39, v24, 2, v36
	v_lshrrev_b32_e32 v43, 16, v0
	s_movk_i32 s0, 0x3aee
	s_mov_b32 s1, 0xbaee
	v_lshrrev_b32_e32 v44, 16, v1
	s_waitcnt vmcnt(0)
	s_barrier
	v_mul_f16_sdwa v22, v7, v13 dst_sel:DWORD dst_unused:UNUSED_PAD src0_sel:DWORD src1_sel:WORD_1
	v_mul_f16_sdwa v24, v26, v13 dst_sel:DWORD dst_unused:UNUSED_PAD src0_sel:DWORD src1_sel:WORD_1
	;; [unrolled: 1-line block ×8, first 2 shown]
	v_fma_f16 v22, v26, v13, v22
	v_fma_f16 v7, v7, v13, -v24
	v_fma_f16 v5, v5, v14, -v45
	;; [unrolled: 1-line block ×4, first 2 shown]
	v_fma_f16 v24, v41, v15, v47
	v_fma_f16 v26, v42, v16, v49
	;; [unrolled: 1-line block ×3, first 2 shown]
	v_add_f16_e32 v40, v7, v5
	v_add_f16_e32 v42, v0, v6
	;; [unrolled: 1-line block ×3, first 2 shown]
	v_sub_f16_e32 v46, v24, v26
	v_add_f16_e32 v47, v43, v24
	v_add_f16_e32 v24, v24, v26
	v_sub_f16_e32 v41, v22, v25
	v_sub_f16_e32 v6, v6, v4
	v_add_f16_e32 v48, v1, v7
	v_fma_f16 v1, v40, -0.5, v1
	v_add_f16_e32 v4, v42, v4
	v_add_f16_e32 v26, v47, v26
	v_fma_f16 v24, v24, -0.5, v43
	v_fma_f16 v40, v45, -0.5, v0
	v_add_f16_e32 v49, v44, v22
	v_add_f16_e32 v22, v22, v25
	v_fma_f16 v0, v41, s0, v1
	v_fma_f16 v1, v41, s1, v1
	v_pack_b32_f16 v4, v4, v26
	v_fma_f16 v26, v46, s0, v40
	v_fma_f16 v41, v6, s1, v24
	v_sub_f16_e32 v7, v7, v5
	v_fma_f16 v22, v22, -0.5, v44
	v_fma_f16 v40, v46, s1, v40
	v_fma_f16 v6, v6, s0, v24
	v_pack_b32_f16 v24, v26, v41
	v_add_f16_e32 v5, v48, v5
	v_add_f16_e32 v25, v49, v25
	v_pack_b32_f16 v6, v40, v6
	ds_write2_b32 v39, v4, v24 offset1:7
	ds_write_b32 v39, v6 offset:56
	v_fma_f16 v24, v7, s1, v22
	v_pack_b32_f16 v4, v5, v25
	v_lshl_add_u32 v40, v21, 2, v36
	v_pack_b32_f16 v5, v0, v24
	ds_write2_b32 v40, v4, v5 offset1:7
	v_mul_f16_sdwa v4, v18, v12 dst_sel:DWORD dst_unused:UNUSED_PAD src0_sel:DWORD src1_sel:WORD_1
	v_fma_f16 v25, v7, s0, v22
	v_mul_f16_sdwa v7, v9, v11 dst_sel:DWORD dst_unused:UNUSED_PAD src0_sel:DWORD src1_sel:WORD_1
	v_fma_f16 v4, v17, v12, -v4
	v_mul_f16_sdwa v5, v17, v12 dst_sel:DWORD dst_unused:UNUSED_PAD src0_sel:DWORD src1_sel:WORD_1
	v_mul_f16_sdwa v6, v3, v11 dst_sel:DWORD dst_unused:UNUSED_PAD src0_sel:DWORD src1_sel:WORD_1
	v_fma_f16 v7, v3, v11, -v7
	v_fma_f16 v5, v18, v12, v5
	v_fma_f16 v6, v9, v11, v6
	v_add_f16_e32 v3, v7, v4
	v_fma_f16 v9, v3, -0.5, v2
	v_sub_f16_e32 v17, v6, v5
	v_fma_f16 v3, v17, s0, v9
	v_fma_f16 v43, v17, s1, v9
	v_add_f16_e32 v9, v8, v6
	v_add_f16_e32 v2, v2, v7
	;; [unrolled: 1-line block ×5, first 2 shown]
	v_fma_f16 v5, v5, -0.5, v8
	v_sub_f16_e32 v4, v7, v4
	v_fma_f16 v45, v4, s1, v5
	v_fma_f16 v44, v4, s0, v5
	v_pack_b32_f16 v4, v1, v25
	v_mov_b32_e32 v6, s13
	ds_write_b32 v40, v4 offset:56
	s_and_saveexec_b64 s[0:1], vcc
	s_cbranch_execz .LBB0_5
; %bb.4:
	v_mul_u32_u24_e32 v4, 21, v37
	v_add_u32_sdwa v4, v4, v38 dst_sel:DWORD dst_unused:UNUSED_PAD src0_sel:DWORD src1_sel:BYTE_0
	s_mov_b32 s4, 0x5040100
	v_lshl_add_u32 v4, v4, 2, v36
	v_perm_b32 v5, v26, v2, s4
	v_perm_b32 v7, v45, v3, s4
	ds_write2_b32 v4, v5, v7 offset1:7
	v_perm_b32 v5, v44, v43, s4
	ds_write_b32 v4, v5 offset:56
.LBB0_5:
	s_or_b64 exec, exec, s[0:1]
	v_add_u32_e32 v4, 0x400, v28
	s_waitcnt lgkmcnt(0)
	s_barrier
	ds_read2_b32 v[17:18], v28 offset1:147
	ds_read2_b32 v[4:5], v4 offset0:38 offset1:185
	v_add_co_u32_e64 v21, s[0:1], s12, v19
	v_addc_co_u32_e64 v22, s[0:1], 0, v6, s[0:1]
	v_cmp_gt_u16_e64 s[0:1], 63, v34
	s_and_saveexec_b64 s[4:5], s[0:1]
	s_cbranch_execz .LBB0_7
; %bb.6:
	v_add_u32_e32 v2, 0x500, v28
	ds_read2_b32 v[0:1], v28 offset0:84 offset1:231
	ds_read2_b32 v[2:3], v2 offset0:58 offset1:205
	s_waitcnt lgkmcnt(1)
	v_lshrrev_b32_e32 v24, 16, v0
	v_lshrrev_b32_e32 v25, 16, v1
	s_waitcnt lgkmcnt(0)
	v_lshrrev_b32_e32 v26, 16, v2
	v_lshrrev_b32_e32 v45, 16, v3
.LBB0_7:
	s_or_b64 exec, exec, s[4:5]
	s_movk_i32 s6, 0x87
	v_mul_lo_u16_sdwa v6, v34, s6 dst_sel:DWORD dst_unused:UNUSED_PAD src0_sel:BYTE_0 src1_sel:DWORD
	v_sub_u16_sdwa v7, v34, v6 dst_sel:DWORD dst_unused:UNUSED_PAD src0_sel:DWORD src1_sel:BYTE_1
	v_lshrrev_b16_e32 v7, 1, v7
	v_and_b32_e32 v7, 0x7f, v7
	v_add_u16_sdwa v6, v7, v6 dst_sel:DWORD dst_unused:UNUSED_PAD src0_sel:DWORD src1_sel:BYTE_1
	v_lshrrev_b16_e32 v6, 4, v6
	v_and_b32_e32 v48, 15, v6
	v_mul_lo_u16_e32 v6, 21, v48
	v_sub_u16_e32 v6, v34, v6
	v_and_b32_e32 v49, 0xff, v6
	v_mad_u64_u32 v[6:7], s[4:5], v49, 12, s[14:15]
	s_waitcnt lgkmcnt(1)
	v_lshrrev_b32_e32 v41, 16, v18
	s_waitcnt lgkmcnt(0)
	v_lshrrev_b32_e32 v42, 16, v4
	global_load_dwordx3 v[7:9], v[6:7], off offset:56
	v_lshrrev_b32_e32 v47, 16, v5
	v_lshrrev_b32_e32 v46, 16, v17
	s_movk_i32 s7, 0x54
	s_waitcnt vmcnt(0)
	v_mul_f16_sdwa v6, v41, v7 dst_sel:DWORD dst_unused:UNUSED_PAD src0_sel:DWORD src1_sel:WORD_1
	v_fma_f16 v50, v18, v7, -v6
	v_mul_f16_sdwa v6, v18, v7 dst_sel:DWORD dst_unused:UNUSED_PAD src0_sel:DWORD src1_sel:WORD_1
	v_fma_f16 v51, v41, v7, v6
	v_mul_f16_sdwa v6, v42, v8 dst_sel:DWORD dst_unused:UNUSED_PAD src0_sel:DWORD src1_sel:WORD_1
	v_fma_f16 v52, v4, v8, -v6
	v_mul_f16_sdwa v4, v4, v8 dst_sel:DWORD dst_unused:UNUSED_PAD src0_sel:DWORD src1_sel:WORD_1
	v_fma_f16 v53, v42, v8, v4
	;; [unrolled: 4-line block ×3, first 2 shown]
	v_mul_lo_u16_sdwa v4, v20, s6 dst_sel:DWORD dst_unused:UNUSED_PAD src0_sel:BYTE_0 src1_sel:DWORD
	v_sub_u16_sdwa v5, v20, v4 dst_sel:DWORD dst_unused:UNUSED_PAD src0_sel:DWORD src1_sel:BYTE_1
	v_lshrrev_b16_e32 v5, 1, v5
	v_and_b32_e32 v5, 0x7f, v5
	v_add_u16_sdwa v4, v5, v4 dst_sel:DWORD dst_unused:UNUSED_PAD src0_sel:DWORD src1_sel:BYTE_1
	v_lshrrev_b16_e32 v4, 4, v4
	v_and_b32_e32 v41, 15, v4
	v_mul_lo_u16_e32 v4, 21, v41
	v_sub_u16_e32 v4, v20, v4
	v_and_b32_e32 v42, 0xff, v4
	v_mad_u64_u32 v[4:5], s[4:5], v42, 12, s[14:15]
	v_sub_f16_e32 v47, v51, v47
	v_fma_f16 v51, v51, 2.0, -v47
	global_load_dwordx3 v[4:6], v[4:5], off offset:56
	s_waitcnt vmcnt(0)
	s_barrier
	s_mov_b32 s6, 0xffff
	v_mul_f16_sdwa v18, v25, v4 dst_sel:DWORD dst_unused:UNUSED_PAD src0_sel:DWORD src1_sel:WORD_1
	v_fma_f16 v18, v1, v4, -v18
	v_mul_f16_sdwa v1, v1, v4 dst_sel:DWORD dst_unused:UNUSED_PAD src0_sel:DWORD src1_sel:WORD_1
	v_fma_f16 v1, v25, v4, v1
	v_mul_f16_sdwa v20, v26, v5 dst_sel:DWORD dst_unused:UNUSED_PAD src0_sel:DWORD src1_sel:WORD_1
	v_mul_f16_sdwa v25, v45, v6 dst_sel:DWORD dst_unused:UNUSED_PAD src0_sel:DWORD src1_sel:WORD_1
	v_fma_f16 v20, v2, v5, -v20
	v_mul_f16_sdwa v2, v2, v5 dst_sel:DWORD dst_unused:UNUSED_PAD src0_sel:DWORD src1_sel:WORD_1
	v_fma_f16 v25, v3, v6, -v25
	v_mul_f16_sdwa v3, v3, v6 dst_sel:DWORD dst_unused:UNUSED_PAD src0_sel:DWORD src1_sel:WORD_1
	v_fma_f16 v2, v26, v5, v2
	v_fma_f16 v3, v45, v6, v3
	v_sub_f16_e32 v26, v17, v52
	v_sub_f16_e32 v45, v46, v53
	;; [unrolled: 1-line block ×3, first 2 shown]
	v_fma_f16 v17, v17, 2.0, -v26
	v_fma_f16 v46, v46, 2.0, -v45
	;; [unrolled: 1-line block ×3, first 2 shown]
	v_add_f16_e32 v52, v45, v52
	v_sub_f16_e32 v50, v17, v50
	v_sub_f16_e32 v51, v46, v51
	;; [unrolled: 1-line block ×3, first 2 shown]
	v_fma_f16 v55, v45, 2.0, -v52
	v_mul_u32_u24_sdwa v45, v48, s7 dst_sel:DWORD dst_unused:UNUSED_PAD src0_sel:WORD_0 src1_sel:DWORD
	v_fma_f16 v53, v17, 2.0, -v50
	v_fma_f16 v54, v46, 2.0, -v51
	;; [unrolled: 1-line block ×3, first 2 shown]
	v_add_u32_e32 v45, v45, v49
	v_sub_f16_e32 v17, v0, v20
	v_sub_f16_e32 v2, v24, v2
	;; [unrolled: 1-line block ×4, first 2 shown]
	v_lshl_add_u32 v45, v45, 2, v36
	v_pack_b32_f16 v48, v53, v54
	v_pack_b32_f16 v26, v26, v55
	v_sub_f16_e32 v20, v17, v3
	v_add_f16_e32 v46, v2, v25
	ds_write2_b32 v45, v48, v26 offset1:21
	v_pack_b32_f16 v26, v50, v51
	v_pack_b32_f16 v47, v47, v52
	ds_write2_b32 v45, v26, v47 offset0:42 offset1:63
	s_and_saveexec_b64 s[4:5], s[0:1]
	s_cbranch_execz .LBB0_9
; %bb.8:
	v_fma_f16 v26, v17, 2.0, -v20
	v_fma_f16 v47, v2, 2.0, -v46
	;; [unrolled: 1-line block ×6, first 2 shown]
	v_sub_f16_e32 v17, v0, v17
	v_sub_f16_e32 v1, v2, v1
	v_mul_u32_u24_sdwa v3, v41, s7 dst_sel:DWORD dst_unused:UNUSED_PAD src0_sel:WORD_0 src1_sel:DWORD
	v_fma_f16 v0, v0, 2.0, -v17
	v_fma_f16 v2, v2, 2.0, -v1
	v_add_u32_e32 v3, v3, v42
	v_lshl_add_u32 v3, v3, 2, v36
	v_pack_b32_f16 v0, v0, v2
	v_pack_b32_f16 v2, v26, v47
	s_mov_b32 s7, 0x5040100
	ds_write2_b32 v3, v0, v2 offset1:21
	v_pack_b32_f16 v0, v17, v1
	v_perm_b32 v1, v46, v20, s7
	ds_write2_b32 v3, v0, v1 offset0:42 offset1:63
.LBB0_9:
	s_or_b64 exec, exec, s[4:5]
	v_mad_u64_u32 v[24:25], s[4:5], v34, 24, s[14:15]
	s_waitcnt lgkmcnt(0)
	s_barrier
	global_load_dwordx4 v[0:3], v[24:25], off offset:308
	global_load_dwordx2 v[17:18], v[24:25], off offset:324
	v_add_u32_e32 v51, 0x400, v28
	ds_read2_b32 v[24:25], v28 offset1:84
	ds_read2_b32 v[47:48], v28 offset0:168 offset1:252
	ds_read_b32 v26, v28 offset:2016
	ds_read2_b32 v[49:50], v51 offset0:80 offset1:164
	s_movk_i32 s7, 0x2b26
	s_waitcnt lgkmcnt(3)
	v_lshrrev_b32_e32 v52, 16, v25
	s_waitcnt lgkmcnt(2)
	v_lshrrev_b32_e32 v53, 16, v47
	v_lshrrev_b32_e32 v54, 16, v48
	s_waitcnt lgkmcnt(1)
	v_lshrrev_b32_e32 v55, 16, v26
	s_waitcnt lgkmcnt(0)
	v_lshrrev_b32_e32 v56, 16, v49
	v_lshrrev_b32_e32 v57, 16, v50
	s_mov_b32 s5, 0xb9e0
	s_movk_i32 s14, 0x39e0
	s_add_u32 s4, s12, 0x930
	s_mov_b32 s12, 0xbcab
	s_mov_b32 s15, 0xb574
	s_waitcnt vmcnt(1)
	v_mul_f16_sdwa v58, v52, v0 dst_sel:DWORD dst_unused:UNUSED_PAD src0_sel:DWORD src1_sel:WORD_1
	v_mul_f16_sdwa v59, v25, v0 dst_sel:DWORD dst_unused:UNUSED_PAD src0_sel:DWORD src1_sel:WORD_1
	;; [unrolled: 1-line block ×8, first 2 shown]
	s_waitcnt vmcnt(0)
	v_mul_f16_sdwa v66, v57, v17 dst_sel:DWORD dst_unused:UNUSED_PAD src0_sel:DWORD src1_sel:WORD_1
	v_mul_f16_sdwa v67, v50, v17 dst_sel:DWORD dst_unused:UNUSED_PAD src0_sel:DWORD src1_sel:WORD_1
	;; [unrolled: 1-line block ×4, first 2 shown]
	v_fma_f16 v25, v25, v0, -v58
	v_fma_f16 v52, v52, v0, v59
	v_fma_f16 v47, v47, v1, -v60
	v_fma_f16 v53, v53, v1, v61
	;; [unrolled: 2-line block ×6, first 2 shown]
	v_add_f16_e32 v58, v25, v26
	v_add_f16_e32 v59, v52, v55
	v_sub_f16_e32 v25, v25, v26
	v_sub_f16_e32 v26, v52, v55
	v_add_f16_e32 v52, v47, v50
	v_add_f16_e32 v55, v53, v57
	v_sub_f16_e32 v47, v47, v50
	v_sub_f16_e32 v50, v53, v57
	;; [unrolled: 4-line block ×4, first 2 shown]
	v_sub_f16_e32 v58, v58, v53
	v_sub_f16_e32 v59, v59, v57
	;; [unrolled: 1-line block ×4, first 2 shown]
	v_add_f16_e32 v62, v48, v47
	v_add_f16_e32 v63, v49, v50
	v_sub_f16_e32 v64, v48, v47
	v_sub_f16_e32 v65, v49, v50
	v_add_f16_e32 v53, v53, v54
	v_add_f16_e32 v54, v57, v56
	v_mul_f16_e32 v56, 0x3a52, v58
	v_mul_f16_e32 v57, 0x3a52, v59
	v_sub_f16_e32 v48, v25, v48
	v_sub_f16_e32 v49, v26, v49
	;; [unrolled: 1-line block ×4, first 2 shown]
	v_add_f16_e32 v25, v62, v25
	v_add_f16_e32 v26, v63, v26
	v_mul_f16_e32 v58, 0x2b26, v52
	v_mul_f16_e32 v59, 0x2b26, v55
	;; [unrolled: 1-line block ×4, first 2 shown]
	v_fma_f16 v52, v52, s7, v56
	v_fma_f16 v55, v55, s7, v57
	v_fma_f16 v56, v60, s5, -v56
	v_fma_f16 v57, v61, s5, -v57
	s_movk_i32 s5, 0x3574
	v_add_f16_e32 v66, v24, v53
	v_add_f16_sdwa v24, v24, v54 dst_sel:DWORD dst_unused:UNUSED_PAD src0_sel:WORD_1 src1_sel:DWORD
	v_fma_f16 v58, v60, s14, -v58
	v_fma_f16 v59, v61, s14, -v59
	v_fma_f16 v60, v48, s5, v62
	v_fma_f16 v61, v49, s5, v63
	s_movk_i32 s5, 0x3b00
	v_mul_f16_e32 v64, 0xbb00, v47
	v_mul_f16_e32 v65, 0xbb00, v50
	v_fma_f16 v53, v53, s12, v66
	v_fma_f16 v54, v54, s12, v24
	v_fma_f16 v47, v47, s5, -v62
	v_fma_f16 v50, v50, s5, -v63
	s_movk_i32 s5, 0x370e
	v_fma_f16 v48, v48, s15, v64
	v_fma_f16 v49, v49, s15, v65
	v_add_f16_e32 v52, v52, v53
	v_add_f16_e32 v55, v55, v54
	;; [unrolled: 1-line block ×6, first 2 shown]
	v_fma_f16 v56, v25, s5, v60
	v_fma_f16 v57, v26, s5, v61
	;; [unrolled: 1-line block ×6, first 2 shown]
	v_add_f16_e32 v48, v57, v52
	v_sub_f16_e32 v49, v55, v56
	v_add_f16_e32 v60, v26, v53
	v_sub_f16_e32 v61, v54, v25
	v_sub_f16_e32 v62, v58, v50
	v_add_f16_e32 v63, v47, v59
	v_pack_b32_f16 v24, v66, v24
	v_pack_b32_f16 v48, v48, v49
	v_add_f16_e32 v50, v50, v58
	v_sub_f16_e32 v47, v59, v47
	v_sub_f16_e32 v26, v53, v26
	v_add_f16_e32 v25, v25, v54
	ds_write2_b32 v28, v24, v48 offset1:84
	v_pack_b32_f16 v24, v60, v61
	v_pack_b32_f16 v48, v62, v63
	v_sub_f16_e32 v52, v52, v57
	v_add_f16_e32 v53, v56, v55
	ds_write2_b32 v28, v24, v48 offset0:168 offset1:252
	v_pack_b32_f16 v24, v50, v47
	v_pack_b32_f16 v25, v26, v25
	ds_write2_b32 v51, v24, v25 offset0:80 offset1:164
	v_pack_b32_f16 v24, v52, v53
	ds_write_b32 v28, v24 offset:2016
	s_waitcnt lgkmcnt(0)
	s_barrier
	global_load_dword v26, v[21:22], off offset:2352
	s_addc_u32 s5, s13, 0
	global_load_dword v49, v19, s[4:5] offset:336
	global_load_dword v50, v19, s[4:5] offset:672
	;; [unrolled: 1-line block ×6, first 2 shown]
	ds_read2_b32 v[21:22], v28 offset1:84
	ds_read2_b32 v[24:25], v28 offset0:168 offset1:252
	ds_read2_b32 v[47:48], v51 offset0:80 offset1:164
	s_movk_i32 s4, 0x3a52
	s_mov_b32 s5, 0xbb00
	s_waitcnt lgkmcnt(2)
	v_lshrrev_b32_e32 v19, 16, v21
	v_lshrrev_b32_e32 v56, 16, v22
	s_waitcnt lgkmcnt(1)
	v_lshrrev_b32_e32 v57, 16, v24
	v_lshrrev_b32_e32 v58, 16, v25
	s_waitcnt vmcnt(5)
	v_mul_f16_sdwa v61, v56, v49 dst_sel:DWORD dst_unused:UNUSED_PAD src0_sel:DWORD src1_sel:WORD_1
	v_mul_f16_sdwa v62, v22, v49 dst_sel:DWORD dst_unused:UNUSED_PAD src0_sel:DWORD src1_sel:WORD_1
	v_fma_f16 v22, v22, v49, -v61
	v_mul_f16_sdwa v59, v19, v26 dst_sel:DWORD dst_unused:UNUSED_PAD src0_sel:DWORD src1_sel:WORD_1
	v_mul_f16_sdwa v60, v21, v26 dst_sel:DWORD dst_unused:UNUSED_PAD src0_sel:DWORD src1_sel:WORD_1
	v_fma_f16 v21, v21, v26, -v59
	v_fma_f16 v19, v19, v26, v60
	v_fma_f16 v26, v56, v49, v62
	v_pack_b32_f16 v19, v21, v19
	v_pack_b32_f16 v21, v22, v26
	s_waitcnt vmcnt(4)
	v_mul_f16_sdwa v63, v57, v50 dst_sel:DWORD dst_unused:UNUSED_PAD src0_sel:DWORD src1_sel:WORD_1
	v_mul_f16_sdwa v64, v24, v50 dst_sel:DWORD dst_unused:UNUSED_PAD src0_sel:DWORD src1_sel:WORD_1
	s_waitcnt vmcnt(3)
	v_mul_f16_sdwa v65, v58, v52 dst_sel:DWORD dst_unused:UNUSED_PAD src0_sel:DWORD src1_sel:WORD_1
	ds_write2_b32 v28, v19, v21 offset1:84
	v_mul_f16_sdwa v19, v25, v52 dst_sel:DWORD dst_unused:UNUSED_PAD src0_sel:DWORD src1_sel:WORD_1
	v_fma_f16 v24, v24, v50, -v63
	v_fma_f16 v49, v57, v50, v64
	v_fma_f16 v50, v25, v52, -v65
	v_fma_f16 v19, v58, v52, v19
	v_pack_b32_f16 v22, v24, v49
	v_pack_b32_f16 v19, v50, v19
	ds_write2_b32 v28, v22, v19 offset0:168 offset1:252
	s_waitcnt lgkmcnt(2)
	v_lshrrev_b32_e32 v19, 16, v47
	s_waitcnt vmcnt(2)
	v_mul_f16_sdwa v21, v19, v53 dst_sel:DWORD dst_unused:UNUSED_PAD src0_sel:DWORD src1_sel:WORD_1
	v_mul_f16_sdwa v22, v47, v53 dst_sel:DWORD dst_unused:UNUSED_PAD src0_sel:DWORD src1_sel:WORD_1
	v_fma_f16 v21, v47, v53, -v21
	v_fma_f16 v19, v19, v53, v22
	ds_read_b32 v24, v28 offset:2016
	v_pack_b32_f16 v19, v21, v19
	v_lshrrev_b32_e32 v21, 16, v48
	s_waitcnt vmcnt(1)
	v_mul_f16_sdwa v22, v21, v54 dst_sel:DWORD dst_unused:UNUSED_PAD src0_sel:DWORD src1_sel:WORD_1
	v_mul_f16_sdwa v25, v48, v54 dst_sel:DWORD dst_unused:UNUSED_PAD src0_sel:DWORD src1_sel:WORD_1
	v_fma_f16 v22, v48, v54, -v22
	v_fma_f16 v21, v21, v54, v25
	v_pack_b32_f16 v21, v22, v21
	ds_write2_b32 v51, v19, v21 offset0:80 offset1:164
	s_waitcnt lgkmcnt(1)
	v_lshrrev_b32_e32 v19, 16, v24
	s_waitcnt vmcnt(0)
	v_mul_f16_sdwa v21, v19, v55 dst_sel:DWORD dst_unused:UNUSED_PAD src0_sel:DWORD src1_sel:WORD_1
	v_mul_f16_sdwa v22, v24, v55 dst_sel:DWORD dst_unused:UNUSED_PAD src0_sel:DWORD src1_sel:WORD_1
	v_fma_f16 v21, v24, v55, -v21
	v_fma_f16 v19, v19, v55, v22
	v_pack_b32_f16 v19, v21, v19
	ds_write_b32 v28, v19 offset:2016
	s_waitcnt lgkmcnt(0)
	s_barrier
	ds_read2_b32 v[21:22], v28 offset1:84
	ds_read2_b32 v[24:25], v28 offset0:168 offset1:252
	ds_read_b32 v19, v28 offset:2016
	ds_read2_b32 v[47:48], v51 offset0:80 offset1:164
	s_waitcnt lgkmcnt(0)
	s_barrier
	v_pk_add_f16 v26, v22, v19
	v_pk_add_f16 v49, v24, v48
	;; [unrolled: 1-line block ×4, first 2 shown]
	v_pk_add_f16 v19, v22, v19 neg_lo:[0,1] neg_hi:[0,1]
	v_pk_add_f16 v22, v24, v48 neg_lo:[0,1] neg_hi:[0,1]
	v_pk_add_f16 v52, v50, v52
	v_pk_add_f16 v24, v47, v25 neg_lo:[0,1] neg_hi:[0,1]
	v_pk_add_f16 v25, v49, v26 neg_lo:[0,1] neg_hi:[0,1]
	;; [unrolled: 1-line block ×4, first 2 shown]
	v_pk_add_f16 v21, v21, v52
	v_pk_add_f16 v47, v24, v22
	v_pk_add_f16 v48, v19, v24 neg_lo:[0,1] neg_hi:[0,1]
	v_pk_mul_f16 v26, v26, s4 op_sel_hi:[1,0]
	v_pk_mul_f16 v25, v25, s14 op_sel_hi:[1,0]
	;; [unrolled: 1-line block ×3, first 2 shown]
	v_pk_add_f16 v49, v50, v49 neg_lo:[0,1] neg_hi:[0,1]
	v_pk_add_f16 v22, v24, v22 neg_lo:[0,1] neg_hi:[0,1]
	s_movk_i32 s5, 0x3846
	v_pk_add_f16 v19, v47, v19
	v_pk_mul_f16 v47, v48, s15 op_sel_hi:[1,0]
	v_pk_fma_f16 v52, v52, s12, v21 op_sel_hi:[1,0,1]
	v_pk_add_f16 v54, v26, v25 op_sel:[1,1] op_sel_hi:[0,0] neg_lo:[1,1] neg_hi:[1,1]
	v_pk_fma_f16 v48, v48, s15, v53 op_sel_hi:[1,0,1] neg_lo:[1,0,1] neg_hi:[1,0,1]
	s_mov_b32 s4, 0xb70e
	v_pk_fma_f16 v24, v49, s7, v25 op_sel_hi:[1,0,1] neg_lo:[1,0,0] neg_hi:[1,0,0]
	v_pk_fma_f16 v25, v22, s5, v53 op_sel_hi:[1,0,1] neg_lo:[1,0,0] neg_hi:[1,0,0]
	v_pk_add_f16 v54, v54, v52 op_sel:[0,1] op_sel_hi:[1,0]
	v_pk_fma_f16 v48, v19, s4, v48 op_sel_hi:[1,0,1]
	v_pk_add_f16 v24, v24, v52
	v_pk_fma_f16 v25, v19, s4, v25 op_sel_hi:[1,0,1]
	v_pk_add_f16 v55, v54, v48
	v_pk_add_f16 v48, v54, v48 neg_lo:[0,1] neg_hi:[0,1]
	v_pk_add_f16 v50, v24, v25 op_sel:[0,1] op_sel_hi:[1,0] neg_lo:[0,1] neg_hi:[0,1]
	v_pk_add_f16 v24, v24, v25 op_sel:[0,1] op_sel_hi:[1,0]
	v_alignbit_b32 v54, v48, v55, 16
	v_bfi_b32 v25, s6, v50, v24
	ds_write2_b32 v23, v54, v25 offset0:2 offset1:3
	v_bfi_b32 v24, s6, v24, v50
	v_alignbit_b32 v25, v55, v48, 16
	ds_write2_b32 v23, v24, v25 offset0:4 offset1:5
	v_pk_fma_f16 v24, v49, s7, v26 op_sel_hi:[1,0,1]
	v_pk_fma_f16 v22, v22, s5, v47 op_sel_hi:[1,0,1]
	v_pk_add_f16 v24, v24, v52
	v_pk_fma_f16 v19, v19, s4, v22 op_sel_hi:[1,0,1]
	v_pk_add_f16 v47, v24, v19 op_sel:[0,1] op_sel_hi:[1,0]
	v_pk_add_f16 v19, v24, v19 op_sel:[0,1] op_sel_hi:[1,0] neg_lo:[0,1] neg_hi:[0,1]
	v_bfi_b32 v22, s6, v19, v47
	v_bfi_b32 v24, s6, v47, v19
	v_add_u32_e32 v48, 0x200, v28
	ds_write2_b32 v23, v21, v24 offset1:1
	ds_write_b32 v23, v22 offset:24
	s_waitcnt lgkmcnt(0)
	s_barrier
	ds_read2_b32 v[21:22], v28 offset1:84
	ds_read2_b32 v[25:26], v48 offset0:68 offset1:152
	ds_read2_b32 v[23:24], v51 offset0:136 offset1:220
	v_lshrrev_b32_e32 v47, 16, v47
	s_and_saveexec_b64 s[4:5], vcc
	s_cbranch_execz .LBB0_11
; %bb.10:
	ds_read2_b32 v[19:20], v48 offset0:40 offset1:236
	ds_read_b32 v43, v28 offset:2240
	s_waitcnt lgkmcnt(1)
	v_lshrrev_b32_e32 v47, 16, v19
	v_lshrrev_b32_e32 v46, 16, v20
	s_waitcnt lgkmcnt(0)
	v_lshrrev_b32_e32 v44, 16, v43
.LBB0_11:
	s_or_b64 exec, exec, s[4:5]
	s_waitcnt lgkmcnt(1)
	v_lshrrev_b32_e32 v49, 16, v25
	v_mul_f16_sdwa v54, v15, v49 dst_sel:DWORD dst_unused:UNUSED_PAD src0_sel:WORD_1 src1_sel:DWORD
	s_waitcnt lgkmcnt(0)
	v_lshrrev_b32_e32 v50, 16, v23
	v_fma_f16 v54, v15, v25, v54
	v_mul_f16_sdwa v25, v15, v25 dst_sel:DWORD dst_unused:UNUSED_PAD src0_sel:WORD_1 src1_sel:DWORD
	v_fma_f16 v15, v15, v49, -v25
	v_mul_f16_sdwa v25, v16, v50 dst_sel:DWORD dst_unused:UNUSED_PAD src0_sel:WORD_1 src1_sel:DWORD
	v_lshrrev_b32_e32 v52, 16, v26
	v_fma_f16 v25, v16, v23, v25
	v_mul_f16_sdwa v23, v16, v23 dst_sel:DWORD dst_unused:UNUSED_PAD src0_sel:WORD_1 src1_sel:DWORD
	v_fma_f16 v16, v16, v50, -v23
	v_mul_f16_sdwa v23, v13, v52 dst_sel:DWORD dst_unused:UNUSED_PAD src0_sel:WORD_1 src1_sel:DWORD
	;; [unrolled: 5-line block ×3, first 2 shown]
	v_fma_f16 v26, v14, v24, v26
	v_mul_f16_sdwa v24, v14, v24 dst_sel:DWORD dst_unused:UNUSED_PAD src0_sel:WORD_1 src1_sel:DWORD
	v_fma_f16 v14, v14, v53, -v24
	v_mul_f16_sdwa v24, v11, v46 dst_sel:DWORD dst_unused:UNUSED_PAD src0_sel:WORD_1 src1_sel:DWORD
	v_fma_f16 v24, v11, v20, v24
	v_mul_f16_sdwa v20, v11, v20 dst_sel:DWORD dst_unused:UNUSED_PAD src0_sel:WORD_1 src1_sel:DWORD
	v_fma_f16 v20, v11, v46, -v20
	v_mul_f16_sdwa v11, v12, v44 dst_sel:DWORD dst_unused:UNUSED_PAD src0_sel:WORD_1 src1_sel:DWORD
	v_fma_f16 v46, v12, v43, v11
	v_mul_f16_sdwa v11, v12, v43 dst_sel:DWORD dst_unused:UNUSED_PAD src0_sel:WORD_1 src1_sel:DWORD
	v_fma_f16 v43, v12, v44, -v11
	v_add_f16_e32 v11, v21, v54
	v_add_f16_e32 v44, v11, v25
	;; [unrolled: 1-line block ×3, first 2 shown]
	v_lshrrev_b32_e32 v48, 16, v21
	v_fma_f16 v11, v11, -0.5, v21
	v_sub_f16_e32 v12, v15, v16
	s_mov_b32 s4, 0xbaee
	s_movk_i32 s5, 0x3aee
	v_fma_f16 v49, v12, s4, v11
	v_fma_f16 v50, v12, s5, v11
	v_add_f16_e32 v11, v48, v15
	v_add_f16_e32 v52, v11, v16
	;; [unrolled: 1-line block ×3, first 2 shown]
	v_fma_f16 v11, v11, -0.5, v48
	v_sub_f16_e32 v12, v54, v25
	v_fma_f16 v25, v12, s5, v11
	v_fma_f16 v48, v12, s4, v11
	v_add_f16_e32 v11, v22, v23
	v_add_f16_e32 v53, v11, v26
	;; [unrolled: 1-line block ×3, first 2 shown]
	v_lshrrev_b32_e32 v51, 16, v22
	v_fma_f16 v12, v11, -0.5, v22
	v_sub_f16_e32 v15, v13, v14
	v_fma_f16 v11, v15, s4, v12
	v_fma_f16 v12, v15, s5, v12
	v_add_f16_e32 v15, v51, v13
	v_add_f16_e32 v13, v13, v14
	v_add_f16_e32 v54, v15, v14
	v_fma_f16 v13, v13, -0.5, v51
	v_sub_f16_e32 v14, v23, v26
	v_fma_f16 v21, v14, s5, v13
	v_fma_f16 v22, v14, s4, v13
	v_add_f16_e32 v14, v46, v24
	v_add_f16_e32 v13, v19, v24
	v_fma_f16 v15, v14, -0.5, v19
	v_add_f16_e32 v19, v20, v47
	v_pack_b32_f16 v26, v44, v52
	v_pack_b32_f16 v25, v49, v25
	v_add_f16_e32 v23, v43, v19
	v_add_f16_e32 v19, v43, v20
	s_barrier
	ds_write2_b32 v39, v26, v25 offset1:7
	v_pack_b32_f16 v25, v50, v48
	v_sub_f16_e32 v16, v20, v43
	v_fma_f16 v19, v19, -0.5, v47
	v_sub_f16_e32 v20, v24, v46
	ds_write_b32 v39, v25 offset:56
	v_pack_b32_f16 v25, v53, v54
	v_pack_b32_f16 v26, v11, v21
	v_add_f16_e32 v13, v46, v13
	v_fma_f16 v14, v16, s4, v15
	v_fma_f16 v24, v20, s5, v19
	ds_write2_b32 v40, v25, v26 offset1:7
	v_pack_b32_f16 v25, v12, v22
	ds_write_b32 v40, v25 offset:56
	s_and_saveexec_b64 s[4:5], vcc
	s_cbranch_execz .LBB0_13
; %bb.12:
	v_mul_f16_e32 v16, 0x3aee, v16
	v_mul_f16_e32 v20, 0x3aee, v20
	v_add_f16_e32 v15, v16, v15
	v_mul_u32_u24_e32 v16, 21, v37
	v_sub_f16_e32 v19, v19, v20
	v_add_u32_sdwa v16, v16, v38 dst_sel:DWORD dst_unused:UNUSED_PAD src0_sel:DWORD src1_sel:BYTE_0
	s_mov_b32 s6, 0x5040100
	v_lshl_add_u32 v16, v16, 2, v36
	v_perm_b32 v20, v23, v13, s6
	v_perm_b32 v25, v24, v14, s6
	v_pack_b32_f16 v15, v15, v19
	ds_write2_b32 v16, v20, v25 offset1:7
	ds_write_b32 v16, v15 offset:56
.LBB0_13:
	s_or_b64 exec, exec, s[4:5]
	v_add_u32_e32 v19, 0x400, v28
	s_waitcnt lgkmcnt(0)
	s_barrier
	ds_read2_b32 v[15:16], v28 offset1:147
	ds_read2_b32 v[19:20], v19 offset0:38 offset1:185
	s_and_saveexec_b64 s[4:5], s[0:1]
	s_cbranch_execz .LBB0_15
; %bb.14:
	v_add_u32_e32 v13, 0x500, v28
	ds_read2_b32 v[11:12], v28 offset0:84 offset1:231
	ds_read2_b32 v[13:14], v13 offset0:58 offset1:205
	s_waitcnt lgkmcnt(1)
	v_lshrrev_b32_e32 v21, 16, v11
	v_lshrrev_b32_e32 v22, 16, v12
	s_waitcnt lgkmcnt(0)
	v_lshrrev_b32_e32 v23, 16, v13
	v_lshrrev_b32_e32 v24, 16, v14
.LBB0_15:
	s_or_b64 exec, exec, s[4:5]
	s_waitcnt lgkmcnt(1)
	v_lshrrev_b32_e32 v26, 16, v16
	v_mul_f16_sdwa v39, v7, v26 dst_sel:DWORD dst_unused:UNUSED_PAD src0_sel:WORD_1 src1_sel:DWORD
	s_waitcnt lgkmcnt(0)
	v_lshrrev_b32_e32 v37, 16, v19
	v_fma_f16 v39, v7, v16, v39
	v_mul_f16_sdwa v16, v7, v16 dst_sel:DWORD dst_unused:UNUSED_PAD src0_sel:WORD_1 src1_sel:DWORD
	v_fma_f16 v7, v7, v26, -v16
	v_mul_f16_sdwa v16, v8, v37 dst_sel:DWORD dst_unused:UNUSED_PAD src0_sel:WORD_1 src1_sel:DWORD
	v_lshrrev_b32_e32 v38, 16, v20
	v_fma_f16 v16, v8, v19, v16
	v_mul_f16_sdwa v19, v8, v19 dst_sel:DWORD dst_unused:UNUSED_PAD src0_sel:WORD_1 src1_sel:DWORD
	v_fma_f16 v8, v8, v37, -v19
	v_mul_f16_sdwa v19, v9, v38 dst_sel:DWORD dst_unused:UNUSED_PAD src0_sel:WORD_1 src1_sel:DWORD
	v_fma_f16 v19, v9, v20, v19
	v_mul_f16_sdwa v20, v9, v20 dst_sel:DWORD dst_unused:UNUSED_PAD src0_sel:WORD_1 src1_sel:DWORD
	v_lshrrev_b32_e32 v25, 16, v15
	v_fma_f16 v9, v9, v38, -v20
	v_sub_f16_e32 v16, v15, v16
	v_sub_f16_e32 v8, v25, v8
	;; [unrolled: 1-line block ×4, first 2 shown]
	v_fma_f16 v15, v15, 2.0, -v16
	v_fma_f16 v20, v25, 2.0, -v8
	;; [unrolled: 1-line block ×4, first 2 shown]
	v_sub_f16_e32 v25, v15, v25
	v_sub_f16_e32 v7, v20, v7
	v_add_f16_e32 v9, v16, v9
	v_sub_f16_e32 v19, v8, v19
	v_fma_f16 v15, v15, 2.0, -v25
	v_fma_f16 v20, v20, 2.0, -v7
	;; [unrolled: 1-line block ×4, first 2 shown]
	v_pack_b32_f16 v15, v15, v20
	v_pack_b32_f16 v8, v16, v8
	s_barrier
	ds_write2_b32 v45, v15, v8 offset1:21
	v_pack_b32_f16 v7, v25, v7
	v_pack_b32_f16 v8, v9, v19
	ds_write2_b32 v45, v7, v8 offset0:42 offset1:63
	s_and_saveexec_b64 s[4:5], s[0:1]
	s_cbranch_execz .LBB0_17
; %bb.16:
	v_mul_f16_sdwa v7, v5, v23 dst_sel:DWORD dst_unused:UNUSED_PAD src0_sel:WORD_1 src1_sel:DWORD
	v_fma_f16 v7, v5, v13, v7
	v_mul_f16_sdwa v13, v5, v13 dst_sel:DWORD dst_unused:UNUSED_PAD src0_sel:WORD_1 src1_sel:DWORD
	v_mul_f16_sdwa v8, v4, v12 dst_sel:DWORD dst_unused:UNUSED_PAD src0_sel:WORD_1 src1_sel:DWORD
	;; [unrolled: 1-line block ×3, first 2 shown]
	v_fma_f16 v5, v5, v23, -v13
	v_mul_f16_sdwa v13, v4, v22 dst_sel:DWORD dst_unused:UNUSED_PAD src0_sel:WORD_1 src1_sel:DWORD
	v_fma_f16 v8, v4, v22, -v8
	v_fma_f16 v9, v6, v24, -v9
	v_fma_f16 v4, v4, v12, v13
	v_mul_f16_sdwa v12, v6, v24 dst_sel:DWORD dst_unused:UNUSED_PAD src0_sel:WORD_1 src1_sel:DWORD
	v_sub_f16_e32 v7, v11, v7
	v_sub_f16_e32 v9, v8, v9
	v_fma_f16 v6, v6, v14, v12
	v_add_f16_e32 v15, v7, v9
	v_sub_f16_e32 v6, v4, v6
	v_fma_f16 v16, v7, 2.0, -v15
	v_sub_f16_e32 v5, v21, v5
	v_fma_f16 v7, v11, 2.0, -v7
	v_fma_f16 v4, v4, 2.0, -v6
	v_sub_f16_e32 v12, v5, v6
	v_sub_f16_e32 v4, v7, v4
	v_fma_f16 v13, v5, 2.0, -v12
	v_fma_f16 v6, v7, 2.0, -v4
	;; [unrolled: 1-line block ×4, first 2 shown]
	s_movk_i32 s0, 0x54
	v_sub_f16_e32 v7, v5, v7
	v_mul_u32_u24_sdwa v8, v41, s0 dst_sel:DWORD dst_unused:UNUSED_PAD src0_sel:WORD_0 src1_sel:DWORD
	v_fma_f16 v5, v5, 2.0, -v7
	v_add_u32_e32 v8, v8, v42
	v_lshl_add_u32 v8, v8, 2, v36
	v_pack_b32_f16 v5, v6, v5
	v_pack_b32_f16 v6, v16, v13
	ds_write2_b32 v8, v5, v6 offset1:21
	v_pack_b32_f16 v4, v4, v7
	v_pack_b32_f16 v5, v15, v12
	ds_write2_b32 v8, v4, v5 offset0:42 offset1:63
.LBB0_17:
	s_or_b64 exec, exec, s[4:5]
	s_waitcnt lgkmcnt(0)
	s_barrier
	ds_read2_b32 v[5:6], v28 offset1:84
	ds_read2_b32 v[7:8], v28 offset0:168 offset1:252
	v_add_u32_e32 v4, 0x400, v28
	ds_read2_b32 v[11:12], v4 offset0:80 offset1:164
	ds_read_b32 v13, v28 offset:2016
	s_waitcnt lgkmcnt(3)
	v_lshrrev_b32_e32 v9, 16, v6
	v_mul_f16_sdwa v21, v0, v9 dst_sel:DWORD dst_unused:UNUSED_PAD src0_sel:WORD_1 src1_sel:DWORD
	s_waitcnt lgkmcnt(2)
	v_lshrrev_b32_e32 v14, 16, v7
	v_fma_f16 v21, v0, v6, v21
	v_mul_f16_sdwa v6, v0, v6 dst_sel:DWORD dst_unused:UNUSED_PAD src0_sel:WORD_1 src1_sel:DWORD
	v_fma_f16 v0, v0, v9, -v6
	v_mul_f16_sdwa v6, v1, v14 dst_sel:DWORD dst_unused:UNUSED_PAD src0_sel:WORD_1 src1_sel:DWORD
	v_lshrrev_b32_e32 v15, 16, v8
	v_fma_f16 v6, v1, v7, v6
	v_mul_f16_sdwa v7, v1, v7 dst_sel:DWORD dst_unused:UNUSED_PAD src0_sel:WORD_1 src1_sel:DWORD
	v_fma_f16 v1, v1, v14, -v7
	v_mul_f16_sdwa v7, v2, v15 dst_sel:DWORD dst_unused:UNUSED_PAD src0_sel:WORD_1 src1_sel:DWORD
	s_waitcnt lgkmcnt(1)
	v_lshrrev_b32_e32 v16, 16, v11
	v_fma_f16 v7, v2, v8, v7
	v_mul_f16_sdwa v8, v2, v8 dst_sel:DWORD dst_unused:UNUSED_PAD src0_sel:WORD_1 src1_sel:DWORD
	v_lshrrev_b32_e32 v19, 16, v12
	v_fma_f16 v2, v2, v15, -v8
	v_mul_f16_sdwa v8, v3, v16 dst_sel:DWORD dst_unused:UNUSED_PAD src0_sel:WORD_1 src1_sel:DWORD
	v_mul_f16_sdwa v9, v3, v11 dst_sel:DWORD dst_unused:UNUSED_PAD src0_sel:WORD_1 src1_sel:DWORD
	s_waitcnt lgkmcnt(0)
	v_lshrrev_b32_e32 v20, 16, v13
	v_fma_f16 v8, v3, v11, v8
	v_fma_f16 v3, v3, v16, -v9
	v_mul_f16_sdwa v9, v17, v19 dst_sel:DWORD dst_unused:UNUSED_PAD src0_sel:WORD_1 src1_sel:DWORD
	v_fma_f16 v9, v17, v12, v9
	v_mul_f16_sdwa v11, v17, v12 dst_sel:DWORD dst_unused:UNUSED_PAD src0_sel:WORD_1 src1_sel:DWORD
	v_mul_f16_sdwa v12, v18, v20 dst_sel:DWORD dst_unused:UNUSED_PAD src0_sel:WORD_1 src1_sel:DWORD
	v_fma_f16 v12, v18, v13, v12
	v_mul_f16_sdwa v13, v18, v13 dst_sel:DWORD dst_unused:UNUSED_PAD src0_sel:WORD_1 src1_sel:DWORD
	v_fma_f16 v11, v17, v19, -v11
	v_fma_f16 v13, v18, v20, -v13
	v_add_f16_e32 v14, v21, v12
	v_add_f16_e32 v15, v0, v13
	v_sub_f16_e32 v0, v0, v13
	v_add_f16_e32 v13, v6, v9
	v_add_f16_e32 v16, v1, v11
	v_sub_f16_e32 v6, v6, v9
	v_sub_f16_e32 v1, v1, v11
	v_add_f16_e32 v9, v7, v8
	v_add_f16_e32 v11, v2, v3
	v_sub_f16_e32 v7, v8, v7
	v_sub_f16_e32 v12, v21, v12
	;; [unrolled: 1-line block ×3, first 2 shown]
	v_add_f16_e32 v3, v13, v14
	v_add_f16_e32 v8, v16, v15
	v_sub_f16_e32 v17, v13, v14
	v_sub_f16_e32 v18, v16, v15
	;; [unrolled: 1-line block ×4, first 2 shown]
	v_add_f16_e32 v19, v7, v6
	v_sub_f16_e32 v13, v9, v13
	v_sub_f16_e32 v16, v11, v16
	;; [unrolled: 1-line block ×5, first 2 shown]
	v_add_f16_e32 v3, v9, v3
	v_add_f16_e32 v9, v19, v12
	v_mul_f16_e32 v12, 0x3a52, v14
	v_mul_f16_e32 v14, 0x3a52, v15
	s_movk_i32 s0, 0x2b26
	v_mul_f16_e32 v15, 0x2b26, v13
	v_mul_f16_e32 v19, 0x2b26, v16
	v_fma_f16 v13, v13, s0, v12
	v_fma_f16 v16, v16, s0, v14
	s_movk_i32 s0, 0x39e0
	v_add_f16_e32 v20, v2, v1
	v_sub_f16_e32 v22, v2, v1
	v_fma_f16 v15, v17, s0, -v15
	v_fma_f16 v19, v18, s0, -v19
	s_mov_b32 s0, 0xb9e0
	v_sub_f16_e32 v2, v0, v2
	v_sub_f16_e32 v1, v1, v0
	v_add_f16_e32 v8, v11, v8
	v_add_f16_e32 v0, v20, v0
	v_mul_f16_e32 v20, 0x3846, v21
	v_mul_f16_e32 v21, 0x3846, v22
	v_fma_f16 v12, v17, s0, -v12
	v_fma_f16 v14, v18, s0, -v14
	s_mov_b32 s0, 0xb574
	v_add_f16_e32 v11, v5, v3
	v_add_f16_sdwa v5, v5, v8 dst_sel:DWORD dst_unused:UNUSED_PAD src0_sel:WORD_1 src1_sel:DWORD
	s_mov_b32 s1, 0xbb00
	v_mul_f16_e32 v22, 0xbb00, v6
	v_mul_f16_e32 v23, 0xbb00, v1
	s_mov_b32 s4, 0xbcab
	v_fma_f16 v17, v7, s0, v20
	v_fma_f16 v18, v2, s0, v21
	s_movk_i32 s0, 0x3574
	v_fma_f16 v3, v3, s4, v11
	v_fma_f16 v8, v8, s4, v5
	v_fma_f16 v6, v6, s1, -v20
	v_fma_f16 v1, v1, s1, -v21
	;; [unrolled: 1-line block ×4, first 2 shown]
	s_mov_b32 s0, 0xb70e
	v_add_f16_e32 v13, v13, v3
	v_add_f16_e32 v16, v16, v8
	;; [unrolled: 1-line block ×6, first 2 shown]
	v_fma_f16 v12, v9, s0, v17
	v_fma_f16 v14, v0, s0, v18
	;; [unrolled: 1-line block ×6, first 2 shown]
	v_add_f16_e32 v2, v14, v13
	v_sub_f16_e32 v9, v16, v12
	v_add_f16_e32 v17, v0, v3
	v_sub_f16_e32 v20, v15, v1
	v_add_f16_e32 v21, v6, v19
	v_add_f16_e32 v1, v1, v15
	v_sub_f16_e32 v6, v19, v6
	v_sub_f16_e32 v0, v3, v0
	v_add_f16_e32 v3, v7, v8
	v_sub_f16_e32 v18, v8, v7
	v_sub_f16_e32 v7, v13, v14
	v_add_f16_e32 v8, v12, v16
	v_pack_b32_f16 v5, v11, v5
	v_pack_b32_f16 v2, v2, v9
	v_pack_b32_f16 v1, v1, v6
	v_pack_b32_f16 v0, v0, v3
	ds_write2_b32 v28, v5, v2 offset1:84
	v_pack_b32_f16 v2, v17, v18
	v_pack_b32_f16 v5, v20, v21
	ds_write2_b32 v4, v1, v0 offset0:80 offset1:164
	v_pack_b32_f16 v0, v7, v8
	ds_write2_b32 v28, v2, v5 offset0:168 offset1:252
	ds_write_b32 v28, v0 offset:2016
	s_waitcnt lgkmcnt(0)
	s_barrier
	ds_read2_b32 v[0:1], v28 offset1:84
	s_mov_b32 s4, 0x899406f7
	s_mov_b32 s5, 0x3f5bdd2b
	s_movk_i32 s6, 0x1ff
	s_movk_i32 s7, 0xffe
	s_waitcnt lgkmcnt(0)
	v_lshrrev_b32_e32 v9, 16, v0
	v_mul_f16_sdwa v2, v35, v9 dst_sel:DWORD dst_unused:UNUSED_PAD src0_sel:WORD_1 src1_sel:DWORD
	v_fma_f16 v2, v35, v0, v2
	v_cvt_f32_f16_e32 v5, v2
	v_mad_u64_u32 v[2:3], s[0:1], s10, v10, 0
	v_mul_f16_sdwa v0, v35, v0 dst_sel:DWORD dst_unused:UNUSED_PAD src0_sel:WORD_1 src1_sel:DWORD
	v_cvt_f64_f32_e32 v[5:6], v5
	v_mad_u64_u32 v[7:8], s[0:1], s11, v10, v[3:4]
	v_fma_f16 v0, v35, v9, -v0
	v_mul_f64 v[5:6], v[5:6], s[4:5]
	v_mov_b32_e32 v3, v7
	s_movk_i32 s10, 0x40f
	s_mov_b32 s11, 0x8000
	v_lshlrev_b64 v[2:3], 2, v[2:3]
	v_and_or_b32 v5, v6, s6, v5
	v_cmp_ne_u32_e32 vcc, 0, v5
	v_cndmask_b32_e64 v5, 0, 1, vcc
	v_lshrrev_b32_e32 v7, 8, v6
	v_bfe_u32 v8, v6, 20, 11
	v_and_or_b32 v5, v7, s7, v5
	v_sub_u32_e32 v10, 0x3f1, v8
	v_or_b32_e32 v7, 0x1000, v5
	v_med3_i32 v10, v10, 0, 13
	v_lshrrev_b32_e32 v11, v10, v7
	v_lshlrev_b32_e32 v10, v10, v11
	v_cmp_ne_u32_e32 vcc, v10, v7
	v_cndmask_b32_e64 v7, 0, 1, vcc
	v_add_u32_e32 v10, 0xfffffc10, v8
	v_or_b32_e32 v7, v11, v7
	v_lshl_or_b32 v8, v10, 12, v5
	v_cmp_gt_i32_e32 vcc, 1, v10
	v_cndmask_b32_e32 v7, v8, v7, vcc
	v_and_b32_e32 v8, 7, v7
	v_cmp_lt_i32_e32 vcc, 5, v8
	v_cmp_eq_u32_e64 s[0:1], 3, v8
	v_cvt_f32_f16_e32 v8, v0
	v_lshrrev_b32_e32 v7, 2, v7
	s_or_b64 vcc, s[0:1], vcc
	v_addc_co_u32_e32 v9, vcc, 0, v7, vcc
	v_cvt_f64_f32_e32 v[7:8], v8
	v_mov_b32_e32 v0, 0x7c00
	v_cmp_gt_i32_e32 vcc, 31, v10
	v_cndmask_b32_e32 v9, v0, v9, vcc
	v_mul_f64 v[7:8], v[7:8], s[4:5]
	v_cmp_ne_u32_e32 vcc, 0, v5
	v_cndmask_b32_e64 v5, 0, 1, vcc
	v_lshl_or_b32 v5, v5, 9, v0
	v_cmp_eq_u32_e32 vcc, s10, v10
	v_cndmask_b32_e32 v5, v9, v5, vcc
	v_lshrrev_b32_e32 v6, 16, v6
	v_and_or_b32 v9, v6, s11, v5
	v_and_or_b32 v5, v8, s6, v7
	v_cmp_ne_u32_e32 vcc, 0, v5
	v_cndmask_b32_e64 v5, 0, 1, vcc
	v_lshrrev_b32_e32 v6, 8, v8
	v_bfe_u32 v7, v8, 20, 11
	v_and_or_b32 v5, v6, s7, v5
	v_sub_u32_e32 v10, 0x3f1, v7
	v_or_b32_e32 v6, 0x1000, v5
	v_med3_i32 v10, v10, 0, 13
	v_lshrrev_b32_e32 v11, v10, v6
	v_lshlrev_b32_e32 v10, v10, v11
	v_cmp_ne_u32_e32 vcc, v10, v6
	v_cndmask_b32_e64 v6, 0, 1, vcc
	v_add_u32_e32 v7, 0xfffffc10, v7
	v_or_b32_e32 v6, v11, v6
	v_lshl_or_b32 v10, v7, 12, v5
	v_cmp_gt_i32_e32 vcc, 1, v7
	v_cndmask_b32_e32 v6, v10, v6, vcc
	v_and_b32_e32 v10, 7, v6
	v_cmp_lt_i32_e32 vcc, 5, v10
	v_cmp_eq_u32_e64 s[0:1], 3, v10
	v_lshrrev_b32_e32 v6, 2, v6
	s_or_b64 vcc, s[0:1], vcc
	v_addc_co_u32_e32 v6, vcc, 0, v6, vcc
	v_cmp_gt_i32_e32 vcc, 31, v7
	v_cndmask_b32_e32 v10, v0, v6, vcc
	v_cmp_ne_u32_e32 vcc, 0, v5
	v_cndmask_b32_e64 v5, 0, 1, vcc
	v_lshl_or_b32 v11, v5, 9, v0
	v_mad_u64_u32 v[5:6], s[0:1], s8, v34, 0
	v_cmp_eq_u32_e32 vcc, s10, v7
	v_cndmask_b32_e32 v10, v10, v11, vcc
	v_mad_u64_u32 v[6:7], s[0:1], s9, v34, v[6:7]
	v_lshrrev_b32_e32 v11, 16, v1
	v_mul_f16_sdwa v7, v33, v11 dst_sel:DWORD dst_unused:UNUSED_PAD src0_sel:WORD_1 src1_sel:DWORD
	v_fma_f16 v7, v33, v1, v7
	v_cvt_f32_f16_e32 v7, v7
	v_lshrrev_b32_e32 v8, 16, v8
	v_and_or_b32 v10, v8, s11, v10
	v_and_b32_e32 v9, 0xffff, v9
	v_cvt_f64_f32_e32 v[7:8], v7
	v_lshl_or_b32 v9, v10, 16, v9
	v_mov_b32_e32 v10, s3
	v_add_co_u32_e32 v12, vcc, s2, v2
	v_mul_f64 v[7:8], v[7:8], s[4:5]
	v_addc_co_u32_e32 v10, vcc, v10, v3, vcc
	v_lshlrev_b64 v[2:3], 2, v[5:6]
	v_mul_f16_sdwa v1, v33, v1 dst_sel:DWORD dst_unused:UNUSED_PAD src0_sel:WORD_1 src1_sel:DWORD
	v_add_co_u32_e32 v2, vcc, v12, v2
	v_addc_co_u32_e32 v3, vcc, v10, v3, vcc
	v_and_or_b32 v5, v8, s6, v7
	v_cmp_ne_u32_e32 vcc, 0, v5
	v_cndmask_b32_e64 v5, 0, 1, vcc
	v_lshrrev_b32_e32 v6, 8, v8
	v_and_or_b32 v7, v6, s7, v5
	v_bfe_u32 v6, v8, 20, 11
	global_store_dword v[2:3], v9, off
	v_sub_u32_e32 v9, 0x3f1, v6
	v_or_b32_e32 v5, 0x1000, v7
	v_med3_i32 v9, v9, 0, 13
	v_lshrrev_b32_e32 v10, v9, v5
	v_lshlrev_b32_e32 v9, v9, v10
	v_cmp_ne_u32_e32 vcc, v9, v5
	v_fma_f16 v1, v33, v11, -v1
	v_cndmask_b32_e64 v5, 0, 1, vcc
	v_add_u32_e32 v9, 0xfffffc10, v6
	v_cvt_f32_f16_e32 v1, v1
	v_or_b32_e32 v5, v10, v5
	v_lshl_or_b32 v6, v9, 12, v7
	v_cmp_gt_i32_e32 vcc, 1, v9
	v_cndmask_b32_e32 v5, v6, v5, vcc
	v_and_b32_e32 v6, 7, v5
	v_cmp_lt_i32_e32 vcc, 5, v6
	v_cmp_eq_u32_e64 s[0:1], 3, v6
	v_lshrrev_b32_e32 v10, 2, v5
	v_cvt_f64_f32_e32 v[5:6], v1
	s_or_b64 vcc, s[0:1], vcc
	v_addc_co_u32_e32 v1, vcc, 0, v10, vcc
	v_mul_f64 v[5:6], v[5:6], s[4:5]
	v_cmp_gt_i32_e32 vcc, 31, v9
	v_cndmask_b32_e32 v1, v0, v1, vcc
	v_cmp_ne_u32_e32 vcc, 0, v7
	v_cndmask_b32_e64 v7, 0, 1, vcc
	v_lshl_or_b32 v7, v7, 9, v0
	v_cmp_eq_u32_e32 vcc, s10, v9
	v_cndmask_b32_e32 v1, v1, v7, vcc
	v_and_or_b32 v5, v6, s6, v5
	v_lshrrev_b32_e32 v7, 16, v8
	v_cmp_ne_u32_e32 vcc, 0, v5
	v_and_or_b32 v1, v7, s11, v1
	v_cndmask_b32_e64 v5, 0, 1, vcc
	v_lshrrev_b32_e32 v7, 8, v6
	v_bfe_u32 v8, v6, 20, 11
	v_and_or_b32 v5, v7, s7, v5
	v_sub_u32_e32 v9, 0x3f1, v8
	v_or_b32_e32 v7, 0x1000, v5
	v_med3_i32 v9, v9, 0, 13
	v_lshrrev_b32_e32 v10, v9, v7
	v_lshlrev_b32_e32 v9, v9, v10
	v_cmp_ne_u32_e32 vcc, v9, v7
	v_cndmask_b32_e64 v7, 0, 1, vcc
	v_add_u32_e32 v9, 0xfffffc10, v8
	v_or_b32_e32 v7, v10, v7
	v_lshl_or_b32 v8, v9, 12, v5
	v_cmp_gt_i32_e32 vcc, 1, v9
	v_cndmask_b32_e32 v7, v8, v7, vcc
	v_and_b32_e32 v8, 7, v7
	v_cmp_lt_i32_e32 vcc, 5, v8
	v_cmp_eq_u32_e64 s[0:1], 3, v8
	v_lshrrev_b32_e32 v7, 2, v7
	s_or_b64 vcc, s[0:1], vcc
	v_addc_co_u32_e32 v7, vcc, 0, v7, vcc
	v_cmp_gt_i32_e32 vcc, 31, v9
	v_cndmask_b32_e32 v10, v0, v7, vcc
	ds_read2_b32 v[7:8], v28 offset0:168 offset1:252
	v_cmp_ne_u32_e32 vcc, 0, v5
	v_cndmask_b32_e64 v5, 0, 1, vcc
	v_lshl_or_b32 v5, v5, 9, v0
	v_cmp_eq_u32_e32 vcc, s10, v9
	s_waitcnt lgkmcnt(0)
	v_lshrrev_b32_e32 v9, 16, v7
	v_cndmask_b32_e32 v5, v10, v5, vcc
	v_mul_f16_sdwa v10, v32, v9 dst_sel:DWORD dst_unused:UNUSED_PAD src0_sel:WORD_1 src1_sel:DWORD
	v_fma_f16 v10, v32, v7, v10
	v_cvt_f32_f16_e32 v10, v10
	v_lshrrev_b32_e32 v6, 16, v6
	v_and_or_b32 v5, v6, s11, v5
	v_and_b32_e32 v1, 0xffff, v1
	v_lshl_or_b32 v11, v5, 16, v1
	v_cvt_f64_f32_e32 v[5:6], v10
	s_mul_i32 s0, s9, 0x150
	s_mul_hi_u32 s2, s8, 0x150
	s_add_i32 s2, s2, s0
	v_mul_f64 v[5:6], v[5:6], s[4:5]
	s_mul_i32 s3, s8, 0x150
	v_mov_b32_e32 v10, s2
	v_add_co_u32_e32 v1, vcc, s3, v2
	v_addc_co_u32_e32 v2, vcc, v3, v10, vcc
	global_store_dword v[1:2], v11, off
	v_and_or_b32 v3, v6, s6, v5
	v_cmp_ne_u32_e32 vcc, 0, v3
	v_cndmask_b32_e64 v3, 0, 1, vcc
	v_lshrrev_b32_e32 v5, 8, v6
	v_bfe_u32 v10, v6, 20, 11
	v_and_or_b32 v3, v5, s7, v3
	v_sub_u32_e32 v11, 0x3f1, v10
	v_or_b32_e32 v5, 0x1000, v3
	v_med3_i32 v11, v11, 0, 13
	v_lshrrev_b32_e32 v12, v11, v5
	v_lshlrev_b32_e32 v11, v11, v12
	v_mul_f16_sdwa v7, v32, v7 dst_sel:DWORD dst_unused:UNUSED_PAD src0_sel:WORD_1 src1_sel:DWORD
	v_cmp_ne_u32_e32 vcc, v11, v5
	v_fma_f16 v7, v32, v9, -v7
	v_cndmask_b32_e64 v5, 0, 1, vcc
	v_add_u32_e32 v11, 0xfffffc10, v10
	v_cvt_f32_f16_e32 v7, v7
	v_or_b32_e32 v5, v12, v5
	v_lshl_or_b32 v10, v11, 12, v3
	v_cmp_gt_i32_e32 vcc, 1, v11
	v_cndmask_b32_e32 v5, v10, v5, vcc
	v_and_b32_e32 v10, 7, v5
	v_cmp_lt_i32_e32 vcc, 5, v10
	v_cmp_eq_u32_e64 s[0:1], 3, v10
	v_cvt_f64_f32_e32 v[9:10], v7
	v_lshrrev_b32_e32 v5, 2, v5
	s_or_b64 vcc, s[0:1], vcc
	v_addc_co_u32_e32 v5, vcc, 0, v5, vcc
	v_mul_f64 v[9:10], v[9:10], s[4:5]
	v_cmp_gt_i32_e32 vcc, 31, v11
	v_cndmask_b32_e32 v5, v0, v5, vcc
	v_cmp_ne_u32_e32 vcc, 0, v3
	v_cndmask_b32_e64 v3, 0, 1, vcc
	v_lshl_or_b32 v3, v3, 9, v0
	v_cmp_eq_u32_e32 vcc, s10, v11
	v_cndmask_b32_e32 v3, v5, v3, vcc
	v_lshrrev_b32_e32 v5, 16, v6
	v_and_or_b32 v3, v5, s11, v3
	v_and_or_b32 v5, v10, s6, v9
	v_cmp_ne_u32_e32 vcc, 0, v5
	v_cndmask_b32_e64 v5, 0, 1, vcc
	v_lshrrev_b32_e32 v6, 8, v10
	v_bfe_u32 v7, v10, 20, 11
	v_and_or_b32 v5, v6, s7, v5
	v_sub_u32_e32 v9, 0x3f1, v7
	v_or_b32_e32 v6, 0x1000, v5
	v_med3_i32 v9, v9, 0, 13
	v_lshrrev_b32_e32 v11, v9, v6
	v_lshlrev_b32_e32 v9, v9, v11
	v_cmp_ne_u32_e32 vcc, v9, v6
	v_cndmask_b32_e64 v6, 0, 1, vcc
	v_add_u32_e32 v7, 0xfffffc10, v7
	v_or_b32_e32 v6, v11, v6
	v_lshl_or_b32 v9, v7, 12, v5
	v_cmp_gt_i32_e32 vcc, 1, v7
	v_cndmask_b32_e32 v6, v9, v6, vcc
	v_and_b32_e32 v9, 7, v6
	v_cmp_lt_i32_e32 vcc, 5, v9
	v_cmp_eq_u32_e64 s[0:1], 3, v9
	v_lshrrev_b32_e32 v9, 16, v8
	v_lshrrev_b32_e32 v6, 2, v6
	s_or_b64 vcc, s[0:1], vcc
	v_mul_f16_sdwa v11, v31, v9 dst_sel:DWORD dst_unused:UNUSED_PAD src0_sel:WORD_1 src1_sel:DWORD
	v_addc_co_u32_e32 v6, vcc, 0, v6, vcc
	v_fma_f16 v11, v31, v8, v11
	v_cmp_gt_i32_e32 vcc, 31, v7
	v_cvt_f32_f16_e32 v11, v11
	v_cndmask_b32_e32 v6, v0, v6, vcc
	v_cmp_ne_u32_e32 vcc, 0, v5
	v_cndmask_b32_e64 v5, 0, 1, vcc
	v_lshl_or_b32 v5, v5, 9, v0
	v_cmp_eq_u32_e32 vcc, s10, v7
	v_cndmask_b32_e32 v7, v6, v5, vcc
	v_cvt_f64_f32_e32 v[5:6], v11
	v_lshrrev_b32_e32 v10, 16, v10
	v_and_or_b32 v7, v10, s11, v7
	v_and_b32_e32 v3, 0xffff, v3
	v_mul_f64 v[5:6], v[5:6], s[4:5]
	v_lshl_or_b32 v3, v7, 16, v3
	v_mov_b32_e32 v7, s2
	v_add_co_u32_e32 v1, vcc, s3, v1
	v_addc_co_u32_e32 v2, vcc, v2, v7, vcc
	global_store_dword v[1:2], v3, off
	v_and_or_b32 v3, v6, s6, v5
	v_cmp_ne_u32_e32 vcc, 0, v3
	v_cndmask_b32_e64 v3, 0, 1, vcc
	v_lshrrev_b32_e32 v5, 8, v6
	v_bfe_u32 v7, v6, 20, 11
	v_and_or_b32 v3, v5, s7, v3
	v_sub_u32_e32 v10, 0x3f1, v7
	v_or_b32_e32 v5, 0x1000, v3
	v_med3_i32 v10, v10, 0, 13
	v_lshrrev_b32_e32 v11, v10, v5
	v_lshlrev_b32_e32 v10, v10, v11
	v_mul_f16_sdwa v8, v31, v8 dst_sel:DWORD dst_unused:UNUSED_PAD src0_sel:WORD_1 src1_sel:DWORD
	v_cmp_ne_u32_e32 vcc, v10, v5
	v_fma_f16 v8, v31, v9, -v8
	v_cndmask_b32_e64 v5, 0, 1, vcc
	v_add_u32_e32 v10, 0xfffffc10, v7
	v_cvt_f32_f16_e32 v8, v8
	v_or_b32_e32 v5, v11, v5
	v_lshl_or_b32 v7, v10, 12, v3
	v_cmp_gt_i32_e32 vcc, 1, v10
	v_cndmask_b32_e32 v5, v7, v5, vcc
	v_and_b32_e32 v7, 7, v5
	v_cmp_lt_i32_e32 vcc, 5, v7
	v_cmp_eq_u32_e64 s[0:1], 3, v7
	v_cvt_f64_f32_e32 v[7:8], v8
	v_lshrrev_b32_e32 v5, 2, v5
	s_or_b64 vcc, s[0:1], vcc
	v_addc_co_u32_e32 v5, vcc, 0, v5, vcc
	v_mul_f64 v[7:8], v[7:8], s[4:5]
	v_cmp_gt_i32_e32 vcc, 31, v10
	v_cndmask_b32_e32 v5, v0, v5, vcc
	v_cmp_ne_u32_e32 vcc, 0, v3
	v_cndmask_b32_e64 v3, 0, 1, vcc
	v_lshl_or_b32 v3, v3, 9, v0
	v_cmp_eq_u32_e32 vcc, s10, v10
	v_cndmask_b32_e32 v3, v5, v3, vcc
	v_lshrrev_b32_e32 v5, 16, v6
	v_and_or_b32 v9, v5, s11, v3
	v_and_or_b32 v3, v8, s6, v7
	v_cmp_ne_u32_e32 vcc, 0, v3
	v_cndmask_b32_e64 v3, 0, 1, vcc
	v_lshrrev_b32_e32 v5, 8, v8
	v_bfe_u32 v6, v8, 20, 11
	v_and_or_b32 v5, v5, s7, v3
	v_sub_u32_e32 v7, 0x3f1, v6
	v_or_b32_e32 v3, 0x1000, v5
	v_med3_i32 v7, v7, 0, 13
	v_lshrrev_b32_e32 v10, v7, v3
	v_lshlrev_b32_e32 v7, v7, v10
	v_cmp_ne_u32_e32 vcc, v7, v3
	v_cndmask_b32_e64 v3, 0, 1, vcc
	v_add_u32_e32 v6, 0xfffffc10, v6
	v_or_b32_e32 v3, v10, v3
	v_lshl_or_b32 v7, v6, 12, v5
	v_cmp_gt_i32_e32 vcc, 1, v6
	v_cndmask_b32_e32 v3, v7, v3, vcc
	v_and_b32_e32 v7, 7, v3
	v_cmp_lt_i32_e32 vcc, 5, v7
	v_cmp_eq_u32_e64 s[0:1], 3, v7
	v_lshrrev_b32_e32 v3, 2, v3
	s_or_b64 vcc, s[0:1], vcc
	v_addc_co_u32_e32 v7, vcc, 0, v3, vcc
	ds_read2_b32 v[3:4], v4 offset0:80 offset1:164
	v_cmp_gt_i32_e32 vcc, 31, v6
	v_cndmask_b32_e32 v7, v0, v7, vcc
	v_cmp_ne_u32_e32 vcc, 0, v5
	v_cndmask_b32_e64 v5, 0, 1, vcc
	s_waitcnt lgkmcnt(0)
	v_lshrrev_b32_e32 v10, 16, v3
	v_mul_f16_sdwa v11, v30, v10 dst_sel:DWORD dst_unused:UNUSED_PAD src0_sel:WORD_1 src1_sel:DWORD
	v_fma_f16 v11, v30, v3, v11
	v_cvt_f32_f16_e32 v11, v11
	v_lshl_or_b32 v5, v5, 9, v0
	v_cmp_eq_u32_e32 vcc, s10, v6
	v_cndmask_b32_e32 v7, v7, v5, vcc
	v_cvt_f64_f32_e32 v[5:6], v11
	v_lshrrev_b32_e32 v8, 16, v8
	v_and_or_b32 v7, v8, s11, v7
	v_and_b32_e32 v8, 0xffff, v9
	v_mul_f64 v[5:6], v[5:6], s[4:5]
	v_lshl_or_b32 v7, v7, 16, v8
	v_mov_b32_e32 v8, s2
	v_add_co_u32_e32 v1, vcc, s3, v1
	v_addc_co_u32_e32 v2, vcc, v2, v8, vcc
	global_store_dword v[1:2], v7, off
	v_and_or_b32 v5, v6, s6, v5
	v_cmp_ne_u32_e32 vcc, 0, v5
	v_cndmask_b32_e64 v5, 0, 1, vcc
	v_lshrrev_b32_e32 v7, 8, v6
	v_bfe_u32 v8, v6, 20, 11
	v_and_or_b32 v5, v7, s7, v5
	v_sub_u32_e32 v9, 0x3f1, v8
	v_or_b32_e32 v7, 0x1000, v5
	v_med3_i32 v9, v9, 0, 13
	v_lshrrev_b32_e32 v11, v9, v7
	v_lshlrev_b32_e32 v9, v9, v11
	v_mul_f16_sdwa v3, v30, v3 dst_sel:DWORD dst_unused:UNUSED_PAD src0_sel:WORD_1 src1_sel:DWORD
	v_cmp_ne_u32_e32 vcc, v9, v7
	v_fma_f16 v3, v30, v10, -v3
	v_cndmask_b32_e64 v7, 0, 1, vcc
	v_add_u32_e32 v9, 0xfffffc10, v8
	v_cvt_f32_f16_e32 v3, v3
	v_or_b32_e32 v7, v11, v7
	v_lshl_or_b32 v8, v9, 12, v5
	v_cmp_gt_i32_e32 vcc, 1, v9
	v_cndmask_b32_e32 v7, v8, v7, vcc
	v_and_b32_e32 v8, 7, v7
	v_cmp_lt_i32_e32 vcc, 5, v8
	v_cmp_eq_u32_e64 s[0:1], 3, v8
	v_lshrrev_b32_e32 v10, 2, v7
	v_cvt_f64_f32_e32 v[7:8], v3
	s_or_b64 vcc, s[0:1], vcc
	v_addc_co_u32_e32 v3, vcc, 0, v10, vcc
	v_mul_f64 v[7:8], v[7:8], s[4:5]
	v_cmp_gt_i32_e32 vcc, 31, v9
	v_cndmask_b32_e32 v3, v0, v3, vcc
	v_cmp_ne_u32_e32 vcc, 0, v5
	v_cndmask_b32_e64 v5, 0, 1, vcc
	v_lshl_or_b32 v5, v5, 9, v0
	v_cmp_eq_u32_e32 vcc, s10, v9
	v_cndmask_b32_e32 v3, v3, v5, vcc
	v_lshrrev_b32_e32 v5, 16, v6
	v_and_or_b32 v3, v5, s11, v3
	v_and_or_b32 v5, v8, s6, v7
	v_cmp_ne_u32_e32 vcc, 0, v5
	v_cndmask_b32_e64 v5, 0, 1, vcc
	v_lshrrev_b32_e32 v6, 8, v8
	v_bfe_u32 v7, v8, 20, 11
	v_and_or_b32 v5, v6, s7, v5
	v_sub_u32_e32 v9, 0x3f1, v7
	v_or_b32_e32 v6, 0x1000, v5
	v_med3_i32 v9, v9, 0, 13
	v_lshrrev_b32_e32 v10, v9, v6
	v_lshlrev_b32_e32 v9, v9, v10
	v_cmp_ne_u32_e32 vcc, v9, v6
	v_cndmask_b32_e64 v6, 0, 1, vcc
	v_add_u32_e32 v7, 0xfffffc10, v7
	v_or_b32_e32 v6, v10, v6
	v_lshl_or_b32 v9, v7, 12, v5
	v_cmp_gt_i32_e32 vcc, 1, v7
	v_cndmask_b32_e32 v6, v9, v6, vcc
	v_and_b32_e32 v9, 7, v6
	v_cmp_lt_i32_e32 vcc, 5, v9
	v_cmp_eq_u32_e64 s[0:1], 3, v9
	v_lshrrev_b32_e32 v9, 16, v4
	v_lshrrev_b32_e32 v6, 2, v6
	s_or_b64 vcc, s[0:1], vcc
	v_mul_f16_sdwa v10, v29, v9 dst_sel:DWORD dst_unused:UNUSED_PAD src0_sel:WORD_1 src1_sel:DWORD
	v_addc_co_u32_e32 v6, vcc, 0, v6, vcc
	v_fma_f16 v10, v29, v4, v10
	v_cmp_gt_i32_e32 vcc, 31, v7
	v_cvt_f32_f16_e32 v10, v10
	v_cndmask_b32_e32 v6, v0, v6, vcc
	v_cmp_ne_u32_e32 vcc, 0, v5
	v_cndmask_b32_e64 v5, 0, 1, vcc
	v_lshl_or_b32 v5, v5, 9, v0
	v_cmp_eq_u32_e32 vcc, s10, v7
	v_cndmask_b32_e32 v7, v6, v5, vcc
	v_cvt_f64_f32_e32 v[5:6], v10
	v_lshrrev_b32_e32 v8, 16, v8
	v_and_or_b32 v7, v8, s11, v7
	v_and_b32_e32 v3, 0xffff, v3
	v_mul_f64 v[5:6], v[5:6], s[4:5]
	v_lshl_or_b32 v3, v7, 16, v3
	v_mov_b32_e32 v7, s2
	v_add_co_u32_e32 v1, vcc, s3, v1
	v_addc_co_u32_e32 v2, vcc, v2, v7, vcc
	global_store_dword v[1:2], v3, off
	v_and_or_b32 v3, v6, s6, v5
	v_cmp_ne_u32_e32 vcc, 0, v3
	v_cndmask_b32_e64 v3, 0, 1, vcc
	v_lshrrev_b32_e32 v5, 8, v6
	v_bfe_u32 v7, v6, 20, 11
	v_and_or_b32 v5, v5, s7, v3
	v_sub_u32_e32 v8, 0x3f1, v7
	v_or_b32_e32 v3, 0x1000, v5
	v_med3_i32 v8, v8, 0, 13
	v_lshrrev_b32_e32 v10, v8, v3
	v_lshlrev_b32_e32 v8, v8, v10
	v_mul_f16_sdwa v4, v29, v4 dst_sel:DWORD dst_unused:UNUSED_PAD src0_sel:WORD_1 src1_sel:DWORD
	v_cmp_ne_u32_e32 vcc, v8, v3
	v_fma_f16 v4, v29, v9, -v4
	v_cndmask_b32_e64 v3, 0, 1, vcc
	v_add_u32_e32 v7, 0xfffffc10, v7
	v_cvt_f32_f16_e32 v4, v4
	v_or_b32_e32 v3, v10, v3
	v_lshl_or_b32 v8, v7, 12, v5
	v_cmp_gt_i32_e32 vcc, 1, v7
	v_cndmask_b32_e32 v3, v8, v3, vcc
	v_and_b32_e32 v8, 7, v3
	v_cmp_lt_i32_e32 vcc, 5, v8
	v_cmp_eq_u32_e64 s[0:1], 3, v8
	v_lshrrev_b32_e32 v8, 2, v3
	v_cvt_f64_f32_e32 v[3:4], v4
	s_or_b64 vcc, s[0:1], vcc
	v_addc_co_u32_e32 v8, vcc, 0, v8, vcc
	v_mul_f64 v[3:4], v[3:4], s[4:5]
	v_cmp_gt_i32_e32 vcc, 31, v7
	v_cndmask_b32_e32 v8, v0, v8, vcc
	v_cmp_ne_u32_e32 vcc, 0, v5
	v_cndmask_b32_e64 v5, 0, 1, vcc
	v_lshl_or_b32 v5, v5, 9, v0
	v_cmp_eq_u32_e32 vcc, s10, v7
	v_cndmask_b32_e32 v5, v8, v5, vcc
	v_and_or_b32 v3, v4, s6, v3
	v_lshrrev_b32_e32 v6, 16, v6
	v_cmp_ne_u32_e32 vcc, 0, v3
	v_and_or_b32 v7, v6, s11, v5
	v_cndmask_b32_e64 v3, 0, 1, vcc
	v_lshrrev_b32_e32 v5, 8, v4
	v_bfe_u32 v6, v4, 20, 11
	v_and_or_b32 v3, v5, s7, v3
	v_sub_u32_e32 v8, 0x3f1, v6
	v_or_b32_e32 v5, 0x1000, v3
	v_med3_i32 v8, v8, 0, 13
	v_lshrrev_b32_e32 v9, v8, v5
	v_lshlrev_b32_e32 v8, v8, v9
	v_cmp_ne_u32_e32 vcc, v8, v5
	v_cndmask_b32_e64 v5, 0, 1, vcc
	v_add_u32_e32 v6, 0xfffffc10, v6
	v_or_b32_e32 v5, v9, v5
	v_lshl_or_b32 v8, v6, 12, v3
	v_cmp_gt_i32_e32 vcc, 1, v6
	v_cndmask_b32_e32 v5, v8, v5, vcc
	v_and_b32_e32 v8, 7, v5
	v_cmp_lt_i32_e32 vcc, 5, v8
	v_cmp_eq_u32_e64 s[0:1], 3, v8
	ds_read_b32 v8, v28 offset:2016
	v_lshrrev_b32_e32 v5, 2, v5
	s_or_b64 vcc, s[0:1], vcc
	v_addc_co_u32_e32 v5, vcc, 0, v5, vcc
	s_waitcnt lgkmcnt(0)
	v_lshrrev_b32_e32 v9, 16, v8
	v_mul_f16_sdwa v10, v27, v9 dst_sel:DWORD dst_unused:UNUSED_PAD src0_sel:WORD_1 src1_sel:DWORD
	v_fma_f16 v10, v27, v8, v10
	v_cmp_gt_i32_e32 vcc, 31, v6
	v_cvt_f32_f16_e32 v10, v10
	v_cndmask_b32_e32 v5, v0, v5, vcc
	v_cmp_ne_u32_e32 vcc, 0, v3
	v_cndmask_b32_e64 v3, 0, 1, vcc
	v_lshl_or_b32 v3, v3, 9, v0
	v_cmp_eq_u32_e32 vcc, s10, v6
	v_cndmask_b32_e32 v3, v5, v3, vcc
	v_cvt_f64_f32_e32 v[5:6], v10
	v_lshrrev_b32_e32 v4, 16, v4
	v_and_or_b32 v10, v4, s11, v3
	v_add_co_u32_e32 v1, vcc, s3, v1
	v_mul_f64 v[3:4], v[5:6], s[4:5]
	v_mov_b32_e32 v6, s2
	v_and_b32_e32 v7, 0xffff, v7
	v_addc_co_u32_e32 v2, vcc, v2, v6, vcc
	v_lshl_or_b32 v5, v10, 16, v7
	global_store_dword v[1:2], v5, off
	v_mul_f16_sdwa v8, v27, v8 dst_sel:DWORD dst_unused:UNUSED_PAD src0_sel:WORD_1 src1_sel:DWORD
	v_and_or_b32 v3, v4, s6, v3
	v_cmp_ne_u32_e32 vcc, 0, v3
	v_cndmask_b32_e64 v3, 0, 1, vcc
	v_lshrrev_b32_e32 v5, 8, v4
	v_bfe_u32 v6, v4, 20, 11
	v_and_or_b32 v3, v5, s7, v3
	v_sub_u32_e32 v7, 0x3f1, v6
	v_or_b32_e32 v5, 0x1000, v3
	v_med3_i32 v7, v7, 0, 13
	v_lshrrev_b32_e32 v10, v7, v5
	v_lshlrev_b32_e32 v7, v7, v10
	v_cmp_ne_u32_e32 vcc, v7, v5
	v_fma_f16 v8, v27, v9, -v8
	v_cndmask_b32_e64 v5, 0, 1, vcc
	v_add_u32_e32 v7, 0xfffffc10, v6
	v_cvt_f32_f16_e32 v8, v8
	v_or_b32_e32 v5, v10, v5
	v_lshl_or_b32 v6, v7, 12, v3
	v_cmp_gt_i32_e32 vcc, 1, v7
	v_cndmask_b32_e32 v5, v6, v5, vcc
	v_and_b32_e32 v6, 7, v5
	v_cmp_lt_i32_e32 vcc, 5, v6
	v_cmp_eq_u32_e64 s[0:1], 3, v6
	v_lshrrev_b32_e32 v9, 2, v5
	v_cvt_f64_f32_e32 v[5:6], v8
	s_or_b64 vcc, s[0:1], vcc
	v_addc_co_u32_e32 v8, vcc, 0, v9, vcc
	v_mul_f64 v[5:6], v[5:6], s[4:5]
	v_cmp_gt_i32_e32 vcc, 31, v7
	v_cndmask_b32_e32 v8, v0, v8, vcc
	v_cmp_ne_u32_e32 vcc, 0, v3
	v_cndmask_b32_e64 v3, 0, 1, vcc
	v_lshl_or_b32 v3, v3, 9, v0
	v_cmp_eq_u32_e32 vcc, s10, v7
	v_cndmask_b32_e32 v3, v8, v3, vcc
	v_lshrrev_b32_e32 v4, 16, v4
	v_and_or_b32 v3, v4, s11, v3
	v_and_or_b32 v4, v6, s6, v5
	v_cmp_ne_u32_e32 vcc, 0, v4
	v_cndmask_b32_e64 v4, 0, 1, vcc
	v_lshrrev_b32_e32 v5, 8, v6
	v_bfe_u32 v7, v6, 20, 11
	v_and_or_b32 v4, v5, s7, v4
	v_sub_u32_e32 v8, 0x3f1, v7
	v_or_b32_e32 v5, 0x1000, v4
	v_med3_i32 v8, v8, 0, 13
	v_lshrrev_b32_e32 v9, v8, v5
	v_lshlrev_b32_e32 v8, v8, v9
	v_cmp_ne_u32_e32 vcc, v8, v5
	v_cndmask_b32_e64 v5, 0, 1, vcc
	v_add_u32_e32 v7, 0xfffffc10, v7
	v_or_b32_e32 v5, v9, v5
	v_lshl_or_b32 v8, v7, 12, v4
	v_cmp_gt_i32_e32 vcc, 1, v7
	v_cndmask_b32_e32 v5, v8, v5, vcc
	v_and_b32_e32 v8, 7, v5
	v_cmp_lt_i32_e32 vcc, 5, v8
	v_cmp_eq_u32_e64 s[0:1], 3, v8
	v_lshrrev_b32_e32 v5, 2, v5
	s_or_b64 vcc, s[0:1], vcc
	v_addc_co_u32_e32 v5, vcc, 0, v5, vcc
	v_cmp_gt_i32_e32 vcc, 31, v7
	v_cndmask_b32_e32 v5, v0, v5, vcc
	v_cmp_ne_u32_e32 vcc, 0, v4
	v_cndmask_b32_e64 v4, 0, 1, vcc
	v_lshl_or_b32 v0, v4, 9, v0
	v_cmp_eq_u32_e32 vcc, s10, v7
	v_cndmask_b32_e32 v0, v5, v0, vcc
	v_lshrrev_b32_e32 v4, 16, v6
	v_and_or_b32 v0, v4, s11, v0
	v_and_b32_e32 v3, 0xffff, v3
	v_lshl_or_b32 v3, v0, 16, v3
	v_mov_b32_e32 v4, s2
	v_add_co_u32_e32 v0, vcc, s3, v1
	v_addc_co_u32_e32 v1, vcc, v2, v4, vcc
	global_store_dword v[0:1], v3, off
.LBB0_18:
	s_endpgm
	.section	.rodata,"a",@progbits
	.p2align	6, 0x0
	.amdhsa_kernel bluestein_single_back_len588_dim1_half_op_CI_CI
		.amdhsa_group_segment_fixed_size 7056
		.amdhsa_private_segment_fixed_size 0
		.amdhsa_kernarg_size 104
		.amdhsa_user_sgpr_count 6
		.amdhsa_user_sgpr_private_segment_buffer 1
		.amdhsa_user_sgpr_dispatch_ptr 0
		.amdhsa_user_sgpr_queue_ptr 0
		.amdhsa_user_sgpr_kernarg_segment_ptr 1
		.amdhsa_user_sgpr_dispatch_id 0
		.amdhsa_user_sgpr_flat_scratch_init 0
		.amdhsa_user_sgpr_private_segment_size 0
		.amdhsa_uses_dynamic_stack 0
		.amdhsa_system_sgpr_private_segment_wavefront_offset 0
		.amdhsa_system_sgpr_workgroup_id_x 1
		.amdhsa_system_sgpr_workgroup_id_y 0
		.amdhsa_system_sgpr_workgroup_id_z 0
		.amdhsa_system_sgpr_workgroup_info 0
		.amdhsa_system_vgpr_workitem_id 0
		.amdhsa_next_free_vgpr 70
		.amdhsa_next_free_sgpr 20
		.amdhsa_reserve_vcc 1
		.amdhsa_reserve_flat_scratch 0
		.amdhsa_float_round_mode_32 0
		.amdhsa_float_round_mode_16_64 0
		.amdhsa_float_denorm_mode_32 3
		.amdhsa_float_denorm_mode_16_64 3
		.amdhsa_dx10_clamp 1
		.amdhsa_ieee_mode 1
		.amdhsa_fp16_overflow 0
		.amdhsa_exception_fp_ieee_invalid_op 0
		.amdhsa_exception_fp_denorm_src 0
		.amdhsa_exception_fp_ieee_div_zero 0
		.amdhsa_exception_fp_ieee_overflow 0
		.amdhsa_exception_fp_ieee_underflow 0
		.amdhsa_exception_fp_ieee_inexact 0
		.amdhsa_exception_int_div_zero 0
	.end_amdhsa_kernel
	.text
.Lfunc_end0:
	.size	bluestein_single_back_len588_dim1_half_op_CI_CI, .Lfunc_end0-bluestein_single_back_len588_dim1_half_op_CI_CI
                                        ; -- End function
	.section	.AMDGPU.csdata,"",@progbits
; Kernel info:
; codeLenInByte = 10836
; NumSgprs: 24
; NumVgprs: 70
; ScratchSize: 0
; MemoryBound: 0
; FloatMode: 240
; IeeeMode: 1
; LDSByteSize: 7056 bytes/workgroup (compile time only)
; SGPRBlocks: 2
; VGPRBlocks: 17
; NumSGPRsForWavesPerEU: 24
; NumVGPRsForWavesPerEU: 70
; Occupancy: 3
; WaveLimiterHint : 1
; COMPUTE_PGM_RSRC2:SCRATCH_EN: 0
; COMPUTE_PGM_RSRC2:USER_SGPR: 6
; COMPUTE_PGM_RSRC2:TRAP_HANDLER: 0
; COMPUTE_PGM_RSRC2:TGID_X_EN: 1
; COMPUTE_PGM_RSRC2:TGID_Y_EN: 0
; COMPUTE_PGM_RSRC2:TGID_Z_EN: 0
; COMPUTE_PGM_RSRC2:TIDIG_COMP_CNT: 0
	.type	__hip_cuid_5f409d5b08d22695,@object ; @__hip_cuid_5f409d5b08d22695
	.section	.bss,"aw",@nobits
	.globl	__hip_cuid_5f409d5b08d22695
__hip_cuid_5f409d5b08d22695:
	.byte	0                               ; 0x0
	.size	__hip_cuid_5f409d5b08d22695, 1

	.ident	"AMD clang version 19.0.0git (https://github.com/RadeonOpenCompute/llvm-project roc-6.4.0 25133 c7fe45cf4b819c5991fe208aaa96edf142730f1d)"
	.section	".note.GNU-stack","",@progbits
	.addrsig
	.addrsig_sym __hip_cuid_5f409d5b08d22695
	.amdgpu_metadata
---
amdhsa.kernels:
  - .args:
      - .actual_access:  read_only
        .address_space:  global
        .offset:         0
        .size:           8
        .value_kind:     global_buffer
      - .actual_access:  read_only
        .address_space:  global
        .offset:         8
        .size:           8
        .value_kind:     global_buffer
      - .actual_access:  read_only
        .address_space:  global
        .offset:         16
        .size:           8
        .value_kind:     global_buffer
      - .actual_access:  read_only
        .address_space:  global
        .offset:         24
        .size:           8
        .value_kind:     global_buffer
      - .actual_access:  read_only
        .address_space:  global
        .offset:         32
        .size:           8
        .value_kind:     global_buffer
      - .offset:         40
        .size:           8
        .value_kind:     by_value
      - .address_space:  global
        .offset:         48
        .size:           8
        .value_kind:     global_buffer
      - .address_space:  global
        .offset:         56
        .size:           8
        .value_kind:     global_buffer
      - .address_space:  global
        .offset:         64
        .size:           8
        .value_kind:     global_buffer
      - .address_space:  global
        .offset:         72
        .size:           8
        .value_kind:     global_buffer
      - .offset:         80
        .size:           4
        .value_kind:     by_value
      - .address_space:  global
        .offset:         88
        .size:           8
        .value_kind:     global_buffer
      - .address_space:  global
        .offset:         96
        .size:           8
        .value_kind:     global_buffer
    .group_segment_fixed_size: 7056
    .kernarg_segment_align: 8
    .kernarg_segment_size: 104
    .language:       OpenCL C
    .language_version:
      - 2
      - 0
    .max_flat_workgroup_size: 252
    .name:           bluestein_single_back_len588_dim1_half_op_CI_CI
    .private_segment_fixed_size: 0
    .sgpr_count:     24
    .sgpr_spill_count: 0
    .symbol:         bluestein_single_back_len588_dim1_half_op_CI_CI.kd
    .uniform_work_group_size: 1
    .uses_dynamic_stack: false
    .vgpr_count:     70
    .vgpr_spill_count: 0
    .wavefront_size: 64
amdhsa.target:   amdgcn-amd-amdhsa--gfx906
amdhsa.version:
  - 1
  - 2
...

	.end_amdgpu_metadata
